;; amdgpu-corpus repo=ROCm/rocFFT kind=compiled arch=gfx1201 opt=O3
	.text
	.amdgcn_target "amdgcn-amd-amdhsa--gfx1201"
	.amdhsa_code_object_version 6
	.protected	fft_rtc_back_len858_factors_13_11_6_wgs_234_tpt_78_halfLds_dp_op_CI_CI_unitstride_sbrr_C2R_dirReg ; -- Begin function fft_rtc_back_len858_factors_13_11_6_wgs_234_tpt_78_halfLds_dp_op_CI_CI_unitstride_sbrr_C2R_dirReg
	.globl	fft_rtc_back_len858_factors_13_11_6_wgs_234_tpt_78_halfLds_dp_op_CI_CI_unitstride_sbrr_C2R_dirReg
	.p2align	8
	.type	fft_rtc_back_len858_factors_13_11_6_wgs_234_tpt_78_halfLds_dp_op_CI_CI_unitstride_sbrr_C2R_dirReg,@function
fft_rtc_back_len858_factors_13_11_6_wgs_234_tpt_78_halfLds_dp_op_CI_CI_unitstride_sbrr_C2R_dirReg: ; @fft_rtc_back_len858_factors_13_11_6_wgs_234_tpt_78_halfLds_dp_op_CI_CI_unitstride_sbrr_C2R_dirReg
; %bb.0:
	s_load_b128 s[8:11], s[0:1], 0x0
	v_mul_u32_u24_e32 v1, 0x349, v0
	s_clause 0x1
	s_load_b128 s[4:7], s[0:1], 0x58
	s_load_b128 s[12:15], s[0:1], 0x18
	v_mov_b32_e32 v5, 0
	v_lshrrev_b32_e32 v3, 16, v1
	v_mov_b32_e32 v1, 0
	v_mov_b32_e32 v2, 0
	s_delay_alu instid0(VALU_DEP_3) | instskip(NEXT) | instid1(VALU_DEP_2)
	v_mad_co_u64_u32 v[3:4], null, ttmp9, 3, v[3:4]
	v_dual_mov_b32 v4, v5 :: v_dual_mov_b32 v57, v2
	s_delay_alu instid0(VALU_DEP_1) | instskip(NEXT) | instid1(VALU_DEP_3)
	v_dual_mov_b32 v56, v1 :: v_dual_mov_b32 v61, v4
	v_mov_b32_e32 v60, v3
	s_wait_kmcnt 0x0
	v_cmp_lt_u64_e64 s2, s[10:11], 2
	s_delay_alu instid0(VALU_DEP_1)
	s_and_b32 vcc_lo, exec_lo, s2
	s_cbranch_vccnz .LBB0_8
; %bb.1:
	s_load_b64 s[2:3], s[0:1], 0x10
	v_dual_mov_b32 v1, 0 :: v_dual_mov_b32 v8, v4
	v_dual_mov_b32 v2, 0 :: v_dual_mov_b32 v7, v3
	s_add_nc_u64 s[16:17], s[14:15], 8
	s_add_nc_u64 s[18:19], s[12:13], 8
	s_mov_b64 s[20:21], 1
	s_delay_alu instid0(VALU_DEP_1)
	v_dual_mov_b32 v57, v2 :: v_dual_mov_b32 v56, v1
	s_wait_kmcnt 0x0
	s_add_nc_u64 s[22:23], s[2:3], 8
	s_mov_b32 s3, 0
.LBB0_2:                                ; =>This Inner Loop Header: Depth=1
	s_load_b64 s[24:25], s[22:23], 0x0
                                        ; implicit-def: $vgpr60_vgpr61
	s_mov_b32 s2, exec_lo
	s_wait_kmcnt 0x0
	v_or_b32_e32 v6, s25, v8
	s_delay_alu instid0(VALU_DEP_1)
	v_cmpx_ne_u64_e32 0, v[5:6]
	s_wait_alu 0xfffe
	s_xor_b32 s26, exec_lo, s2
	s_cbranch_execz .LBB0_4
; %bb.3:                                ;   in Loop: Header=BB0_2 Depth=1
	s_cvt_f32_u32 s2, s24
	s_cvt_f32_u32 s27, s25
	s_sub_nc_u64 s[30:31], 0, s[24:25]
	s_wait_alu 0xfffe
	s_delay_alu instid0(SALU_CYCLE_1) | instskip(SKIP_1) | instid1(SALU_CYCLE_2)
	s_fmamk_f32 s2, s27, 0x4f800000, s2
	s_wait_alu 0xfffe
	v_s_rcp_f32 s2, s2
	s_delay_alu instid0(TRANS32_DEP_1) | instskip(SKIP_1) | instid1(SALU_CYCLE_2)
	s_mul_f32 s2, s2, 0x5f7ffffc
	s_wait_alu 0xfffe
	s_mul_f32 s27, s2, 0x2f800000
	s_wait_alu 0xfffe
	s_delay_alu instid0(SALU_CYCLE_2) | instskip(SKIP_1) | instid1(SALU_CYCLE_2)
	s_trunc_f32 s27, s27
	s_wait_alu 0xfffe
	s_fmamk_f32 s2, s27, 0xcf800000, s2
	s_cvt_u32_f32 s29, s27
	s_wait_alu 0xfffe
	s_delay_alu instid0(SALU_CYCLE_1) | instskip(SKIP_1) | instid1(SALU_CYCLE_2)
	s_cvt_u32_f32 s28, s2
	s_wait_alu 0xfffe
	s_mul_u64 s[34:35], s[30:31], s[28:29]
	s_wait_alu 0xfffe
	s_mul_hi_u32 s37, s28, s35
	s_mul_i32 s36, s28, s35
	s_mul_hi_u32 s2, s28, s34
	s_mul_i32 s33, s29, s34
	s_wait_alu 0xfffe
	s_add_nc_u64 s[36:37], s[2:3], s[36:37]
	s_mul_hi_u32 s27, s29, s34
	s_mul_hi_u32 s38, s29, s35
	s_add_co_u32 s2, s36, s33
	s_wait_alu 0xfffe
	s_add_co_ci_u32 s2, s37, s27
	s_mul_i32 s34, s29, s35
	s_add_co_ci_u32 s35, s38, 0
	s_wait_alu 0xfffe
	s_add_nc_u64 s[34:35], s[2:3], s[34:35]
	s_wait_alu 0xfffe
	v_add_co_u32 v4, s2, s28, s34
	s_delay_alu instid0(VALU_DEP_1) | instskip(SKIP_1) | instid1(VALU_DEP_1)
	s_cmp_lg_u32 s2, 0
	s_add_co_ci_u32 s29, s29, s35
	v_readfirstlane_b32 s28, v4
	s_wait_alu 0xfffe
	s_delay_alu instid0(VALU_DEP_1)
	s_mul_u64 s[30:31], s[30:31], s[28:29]
	s_wait_alu 0xfffe
	s_mul_hi_u32 s35, s28, s31
	s_mul_i32 s34, s28, s31
	s_mul_hi_u32 s2, s28, s30
	s_mul_i32 s33, s29, s30
	s_wait_alu 0xfffe
	s_add_nc_u64 s[34:35], s[2:3], s[34:35]
	s_mul_hi_u32 s27, s29, s30
	s_mul_hi_u32 s28, s29, s31
	s_wait_alu 0xfffe
	s_add_co_u32 s2, s34, s33
	s_add_co_ci_u32 s2, s35, s27
	s_mul_i32 s30, s29, s31
	s_add_co_ci_u32 s31, s28, 0
	s_wait_alu 0xfffe
	s_add_nc_u64 s[30:31], s[2:3], s[30:31]
	s_wait_alu 0xfffe
	v_add_co_u32 v4, s2, v4, s30
	s_delay_alu instid0(VALU_DEP_1) | instskip(SKIP_1) | instid1(VALU_DEP_1)
	s_cmp_lg_u32 s2, 0
	s_add_co_ci_u32 s2, s29, s31
	v_mul_hi_u32 v6, v7, v4
	s_wait_alu 0xfffe
	v_mad_co_u64_u32 v[9:10], null, v7, s2, 0
	v_mad_co_u64_u32 v[11:12], null, v8, v4, 0
	;; [unrolled: 1-line block ×3, first 2 shown]
	s_delay_alu instid0(VALU_DEP_3) | instskip(SKIP_1) | instid1(VALU_DEP_4)
	v_add_co_u32 v4, vcc_lo, v6, v9
	s_wait_alu 0xfffd
	v_add_co_ci_u32_e32 v6, vcc_lo, 0, v10, vcc_lo
	s_delay_alu instid0(VALU_DEP_2) | instskip(SKIP_1) | instid1(VALU_DEP_2)
	v_add_co_u32 v4, vcc_lo, v4, v11
	s_wait_alu 0xfffd
	v_add_co_ci_u32_e32 v4, vcc_lo, v6, v12, vcc_lo
	s_wait_alu 0xfffd
	v_add_co_ci_u32_e32 v6, vcc_lo, 0, v14, vcc_lo
	s_delay_alu instid0(VALU_DEP_2) | instskip(SKIP_1) | instid1(VALU_DEP_2)
	v_add_co_u32 v4, vcc_lo, v4, v13
	s_wait_alu 0xfffd
	v_add_co_ci_u32_e32 v6, vcc_lo, 0, v6, vcc_lo
	s_delay_alu instid0(VALU_DEP_2) | instskip(SKIP_1) | instid1(VALU_DEP_3)
	v_mul_lo_u32 v11, s25, v4
	v_mad_co_u64_u32 v[9:10], null, s24, v4, 0
	v_mul_lo_u32 v12, s24, v6
	s_delay_alu instid0(VALU_DEP_2) | instskip(NEXT) | instid1(VALU_DEP_2)
	v_sub_co_u32 v9, vcc_lo, v7, v9
	v_add3_u32 v10, v10, v12, v11
	s_delay_alu instid0(VALU_DEP_1) | instskip(SKIP_1) | instid1(VALU_DEP_1)
	v_sub_nc_u32_e32 v11, v8, v10
	s_wait_alu 0xfffd
	v_subrev_co_ci_u32_e64 v11, s2, s25, v11, vcc_lo
	v_add_co_u32 v12, s2, v4, 2
	s_wait_alu 0xf1ff
	v_add_co_ci_u32_e64 v13, s2, 0, v6, s2
	v_sub_co_u32 v14, s2, v9, s24
	v_sub_co_ci_u32_e32 v10, vcc_lo, v8, v10, vcc_lo
	s_wait_alu 0xf1ff
	v_subrev_co_ci_u32_e64 v11, s2, 0, v11, s2
	s_delay_alu instid0(VALU_DEP_3) | instskip(NEXT) | instid1(VALU_DEP_3)
	v_cmp_le_u32_e32 vcc_lo, s24, v14
	v_cmp_eq_u32_e64 s2, s25, v10
	s_wait_alu 0xfffd
	v_cndmask_b32_e64 v14, 0, -1, vcc_lo
	v_cmp_le_u32_e32 vcc_lo, s25, v11
	s_wait_alu 0xfffd
	v_cndmask_b32_e64 v15, 0, -1, vcc_lo
	v_cmp_le_u32_e32 vcc_lo, s24, v9
	;; [unrolled: 3-line block ×3, first 2 shown]
	s_wait_alu 0xfffd
	v_cndmask_b32_e64 v16, 0, -1, vcc_lo
	v_cmp_eq_u32_e32 vcc_lo, s25, v11
	s_wait_alu 0xf1ff
	s_delay_alu instid0(VALU_DEP_2)
	v_cndmask_b32_e64 v9, v16, v9, s2
	s_wait_alu 0xfffd
	v_cndmask_b32_e32 v11, v15, v14, vcc_lo
	v_add_co_u32 v14, vcc_lo, v4, 1
	s_wait_alu 0xfffd
	v_add_co_ci_u32_e32 v15, vcc_lo, 0, v6, vcc_lo
	s_delay_alu instid0(VALU_DEP_3) | instskip(SKIP_1) | instid1(VALU_DEP_2)
	v_cmp_ne_u32_e32 vcc_lo, 0, v11
	s_wait_alu 0xfffd
	v_dual_cndmask_b32 v10, v15, v13 :: v_dual_cndmask_b32 v11, v14, v12
	v_cmp_ne_u32_e32 vcc_lo, 0, v9
	s_wait_alu 0xfffd
	s_delay_alu instid0(VALU_DEP_2)
	v_dual_cndmask_b32 v61, v6, v10 :: v_dual_cndmask_b32 v60, v4, v11
.LBB0_4:                                ;   in Loop: Header=BB0_2 Depth=1
	s_wait_alu 0xfffe
	s_and_not1_saveexec_b32 s2, s26
	s_cbranch_execz .LBB0_6
; %bb.5:                                ;   in Loop: Header=BB0_2 Depth=1
	v_cvt_f32_u32_e32 v4, s24
	s_sub_co_i32 s26, 0, s24
	v_mov_b32_e32 v61, v5
	s_delay_alu instid0(VALU_DEP_2) | instskip(NEXT) | instid1(TRANS32_DEP_1)
	v_rcp_iflag_f32_e32 v4, v4
	v_mul_f32_e32 v4, 0x4f7ffffe, v4
	s_delay_alu instid0(VALU_DEP_1) | instskip(SKIP_1) | instid1(VALU_DEP_1)
	v_cvt_u32_f32_e32 v4, v4
	s_wait_alu 0xfffe
	v_mul_lo_u32 v6, s26, v4
	s_delay_alu instid0(VALU_DEP_1) | instskip(NEXT) | instid1(VALU_DEP_1)
	v_mul_hi_u32 v6, v4, v6
	v_add_nc_u32_e32 v4, v4, v6
	s_delay_alu instid0(VALU_DEP_1) | instskip(NEXT) | instid1(VALU_DEP_1)
	v_mul_hi_u32 v4, v7, v4
	v_mul_lo_u32 v6, v4, s24
	s_delay_alu instid0(VALU_DEP_1) | instskip(NEXT) | instid1(VALU_DEP_1)
	v_sub_nc_u32_e32 v6, v7, v6
	v_subrev_nc_u32_e32 v10, s24, v6
	v_cmp_le_u32_e32 vcc_lo, s24, v6
	s_wait_alu 0xfffd
	s_delay_alu instid0(VALU_DEP_2) | instskip(NEXT) | instid1(VALU_DEP_1)
	v_dual_cndmask_b32 v6, v6, v10 :: v_dual_add_nc_u32 v9, 1, v4
	v_cndmask_b32_e32 v4, v4, v9, vcc_lo
	s_delay_alu instid0(VALU_DEP_2) | instskip(NEXT) | instid1(VALU_DEP_2)
	v_cmp_le_u32_e32 vcc_lo, s24, v6
	v_add_nc_u32_e32 v9, 1, v4
	s_wait_alu 0xfffd
	s_delay_alu instid0(VALU_DEP_1)
	v_cndmask_b32_e32 v60, v4, v9, vcc_lo
.LBB0_6:                                ;   in Loop: Header=BB0_2 Depth=1
	s_wait_alu 0xfffe
	s_or_b32 exec_lo, exec_lo, s2
	v_mul_lo_u32 v4, v61, s24
	s_delay_alu instid0(VALU_DEP_2)
	v_mul_lo_u32 v6, v60, s25
	s_load_b64 s[26:27], s[18:19], 0x0
	v_mad_co_u64_u32 v[9:10], null, v60, s24, 0
	s_load_b64 s[24:25], s[16:17], 0x0
	s_add_nc_u64 s[20:21], s[20:21], 1
	s_add_nc_u64 s[16:17], s[16:17], 8
	s_wait_alu 0xfffe
	v_cmp_ge_u64_e64 s2, s[20:21], s[10:11]
	s_add_nc_u64 s[18:19], s[18:19], 8
	s_add_nc_u64 s[22:23], s[22:23], 8
	v_add3_u32 v4, v10, v6, v4
	v_sub_co_u32 v6, vcc_lo, v7, v9
	s_wait_alu 0xfffd
	s_delay_alu instid0(VALU_DEP_2) | instskip(SKIP_2) | instid1(VALU_DEP_1)
	v_sub_co_ci_u32_e32 v4, vcc_lo, v8, v4, vcc_lo
	s_and_b32 vcc_lo, exec_lo, s2
	s_wait_kmcnt 0x0
	v_mul_lo_u32 v7, s26, v4
	v_mul_lo_u32 v8, s27, v6
	v_mad_co_u64_u32 v[1:2], null, s26, v6, v[1:2]
	v_mul_lo_u32 v4, s24, v4
	v_mul_lo_u32 v9, s25, v6
	v_mad_co_u64_u32 v[56:57], null, s24, v6, v[56:57]
	s_delay_alu instid0(VALU_DEP_4) | instskip(NEXT) | instid1(VALU_DEP_2)
	v_add3_u32 v2, v8, v2, v7
	v_add3_u32 v57, v9, v57, v4
	s_wait_alu 0xfffe
	s_cbranch_vccnz .LBB0_8
; %bb.7:                                ;   in Loop: Header=BB0_2 Depth=1
	v_dual_mov_b32 v7, v60 :: v_dual_mov_b32 v8, v61
	s_branch .LBB0_2
.LBB0_8:
	s_load_b64 s[0:1], s[0:1], 0x28
	v_mul_hi_u32 v4, 0xaaaaaaab, v3
	s_lshl_b64 s[10:11], s[10:11], 3
                                        ; implicit-def: $vgpr58
	s_wait_alu 0xfffe
	s_add_nc_u64 s[2:3], s[14:15], s[10:11]
	s_delay_alu instid0(VALU_DEP_1) | instskip(NEXT) | instid1(VALU_DEP_1)
	v_lshrrev_b32_e32 v4, 1, v4
	v_lshl_add_u32 v5, v4, 1, v4
	v_mul_hi_u32 v4, 0x3483484, v0
	s_delay_alu instid0(VALU_DEP_2) | instskip(SKIP_3) | instid1(VALU_DEP_1)
	v_sub_nc_u32_e32 v3, v3, v5
	s_wait_kmcnt 0x0
	v_cmp_gt_u64_e32 vcc_lo, s[0:1], v[60:61]
	v_cmp_le_u64_e64 s0, s[0:1], v[60:61]
	s_and_saveexec_b32 s1, s0
	s_wait_alu 0xfffe
	s_xor_b32 s0, exec_lo, s1
; %bb.9:
	v_mul_u32_u24_e32 v1, 0x4e, v4
                                        ; implicit-def: $vgpr4
	s_delay_alu instid0(VALU_DEP_1)
	v_sub_nc_u32_e32 v58, v0, v1
                                        ; implicit-def: $vgpr0
                                        ; implicit-def: $vgpr1_vgpr2
; %bb.10:
	s_wait_alu 0xfffe
	s_or_saveexec_b32 s1, s0
	s_load_b64 s[2:3], s[2:3], 0x0
	v_mul_u32_u24_e32 v3, 0x35b, v3
	s_delay_alu instid0(VALU_DEP_1)
	v_lshlrev_b32_e32 v135, 4, v3
	s_xor_b32 exec_lo, exec_lo, s1
	s_cbranch_execz .LBB0_14
; %bb.11:
	s_add_nc_u64 s[10:11], s[12:13], s[10:11]
	v_lshlrev_b64_e32 v[1:2], 4, v[1:2]
	s_load_b64 s[10:11], s[10:11], 0x0
	s_wait_kmcnt 0x0
	v_mul_lo_u32 v7, s11, v60
	v_mul_lo_u32 v8, s10, v61
	v_mad_co_u64_u32 v[5:6], null, s10, v60, 0
	s_delay_alu instid0(VALU_DEP_1) | instskip(SKIP_1) | instid1(VALU_DEP_2)
	v_add3_u32 v6, v6, v8, v7
	v_mul_u32_u24_e32 v7, 0x4e, v4
	v_lshlrev_b64_e32 v[4:5], 4, v[5:6]
	s_delay_alu instid0(VALU_DEP_2) | instskip(NEXT) | instid1(VALU_DEP_1)
	v_sub_nc_u32_e32 v58, v0, v7
	v_lshlrev_b32_e32 v48, 4, v58
	s_delay_alu instid0(VALU_DEP_3) | instskip(SKIP_1) | instid1(VALU_DEP_4)
	v_add_co_u32 v0, s0, s4, v4
	s_wait_alu 0xf1ff
	v_add_co_ci_u32_e64 v4, s0, s5, v5, s0
	s_mov_b32 s4, exec_lo
	s_delay_alu instid0(VALU_DEP_2) | instskip(SKIP_1) | instid1(VALU_DEP_2)
	v_add_co_u32 v0, s0, v0, v1
	s_wait_alu 0xf1ff
	v_add_co_ci_u32_e64 v1, s0, v4, v2, s0
	v_add3_u32 v2, 0, v135, v48
	s_delay_alu instid0(VALU_DEP_3) | instskip(SKIP_1) | instid1(VALU_DEP_3)
	v_add_co_u32 v44, s0, v0, v48
	s_wait_alu 0xf1ff
	v_add_co_ci_u32_e64 v45, s0, 0, v1, s0
	s_clause 0xa
	global_load_b128 v[4:7], v[44:45], off
	global_load_b128 v[8:11], v[44:45], off offset:1248
	global_load_b128 v[12:15], v[44:45], off offset:2496
	;; [unrolled: 1-line block ×10, first 2 shown]
	s_wait_loadcnt 0xa
	ds_store_b128 v2, v[4:7]
	s_wait_loadcnt 0x9
	ds_store_b128 v2, v[8:11] offset:1248
	s_wait_loadcnt 0x8
	ds_store_b128 v2, v[12:15] offset:2496
	;; [unrolled: 2-line block ×10, first 2 shown]
	v_cmpx_eq_u32_e32 0x4d, v58
	s_cbranch_execz .LBB0_13
; %bb.12:
	global_load_b128 v[4:7], v[0:1], off offset:13728
	v_mov_b32_e32 v58, 0x4d
	s_wait_loadcnt 0x0
	ds_store_b128 v2, v[4:7] offset:12496
.LBB0_13:
	s_wait_alu 0xfffe
	s_or_b32 exec_lo, exec_lo, s4
.LBB0_14:
	s_delay_alu instid0(SALU_CYCLE_1)
	s_or_b32 exec_lo, exec_lo, s1
	v_lshl_add_u32 v134, v3, 4, 0
	v_lshlrev_b32_e32 v10, 4, v58
	global_wb scope:SCOPE_SE
	s_wait_dscnt 0x0
	s_wait_kmcnt 0x0
	s_barrier_signal -1
	s_barrier_wait -1
	global_inv scope:SCOPE_SE
	v_add_nc_u32_e32 v136, v134, v10
	v_sub_nc_u32_e32 v11, v134, v10
	s_mov_b32 s1, exec_lo
                                        ; implicit-def: $vgpr4_vgpr5
	ds_load_b64 v[6:7], v136
	ds_load_b64 v[8:9], v11 offset:13728
	s_wait_dscnt 0x0
	v_add_f64_e32 v[0:1], v[6:7], v[8:9]
	v_add_f64_e64 v[2:3], v[6:7], -v[8:9]
	v_cmpx_ne_u32_e32 0, v58
	s_wait_alu 0xfffe
	s_xor_b32 s1, exec_lo, s1
	s_cbranch_execz .LBB0_16
; %bb.15:
	v_mov_b32_e32 v59, 0
	v_add_f64_e32 v[14:15], v[6:7], v[8:9]
	v_add_f64_e64 v[16:17], v[6:7], -v[8:9]
	s_delay_alu instid0(VALU_DEP_3) | instskip(NEXT) | instid1(VALU_DEP_1)
	v_lshlrev_b64_e32 v[0:1], 4, v[58:59]
	v_add_co_u32 v0, s0, s8, v0
	s_wait_alu 0xf1ff
	s_delay_alu instid0(VALU_DEP_2)
	v_add_co_ci_u32_e64 v1, s0, s9, v1, s0
	global_load_b128 v[2:5], v[0:1], off offset:13520
	ds_load_b64 v[0:1], v11 offset:13736
	ds_load_b64 v[12:13], v136 offset:8
	s_wait_dscnt 0x0
	v_add_f64_e32 v[6:7], v[0:1], v[12:13]
	v_add_f64_e64 v[0:1], v[12:13], -v[0:1]
	s_wait_loadcnt 0x0
	v_fma_f64 v[8:9], v[16:17], v[4:5], v[14:15]
	v_fma_f64 v[12:13], -v[16:17], v[4:5], v[14:15]
	s_delay_alu instid0(VALU_DEP_3) | instskip(SKIP_1) | instid1(VALU_DEP_4)
	v_fma_f64 v[14:15], v[6:7], v[4:5], -v[0:1]
	v_fma_f64 v[4:5], v[6:7], v[4:5], v[0:1]
	v_fma_f64 v[0:1], -v[6:7], v[2:3], v[8:9]
	s_delay_alu instid0(VALU_DEP_4) | instskip(NEXT) | instid1(VALU_DEP_4)
	v_fma_f64 v[6:7], v[6:7], v[2:3], v[12:13]
	v_fma_f64 v[8:9], v[16:17], v[2:3], v[14:15]
	s_delay_alu instid0(VALU_DEP_4)
	v_fma_f64 v[2:3], v[16:17], v[2:3], v[4:5]
	v_dual_mov_b32 v4, v58 :: v_dual_mov_b32 v5, v59
	ds_store_b128 v11, v[6:9] offset:13728
.LBB0_16:
	s_wait_alu 0xfffe
	s_and_not1_saveexec_b32 s0, s1
	s_cbranch_execz .LBB0_18
; %bb.17:
	ds_load_b128 v[4:7], v134 offset:6864
	s_wait_dscnt 0x0
	v_add_f64_e32 v[12:13], v[4:5], v[4:5]
	v_mul_f64_e32 v[14:15], -2.0, v[6:7]
	v_mov_b32_e32 v4, 0
	v_mov_b32_e32 v5, 0
	ds_store_b128 v134, v[12:15] offset:6864
.LBB0_18:
	s_wait_alu 0xfffe
	s_or_b32 exec_lo, exec_lo, s0
	v_lshlrev_b64_e32 v[4:5], 4, v[4:5]
	s_add_nc_u64 s[0:1], s[8:9], 0x34d0
	s_wait_alu 0xfffe
	s_delay_alu instid0(VALU_DEP_1) | instskip(SKIP_1) | instid1(VALU_DEP_2)
	v_add_co_u32 v4, s0, s0, v4
	s_wait_alu 0xf1ff
	v_add_co_ci_u32_e64 v5, s0, s1, v5, s0
	s_mov_b32 s1, exec_lo
	s_clause 0x1
	global_load_b128 v[6:9], v[4:5], off offset:1248
	global_load_b128 v[12:15], v[4:5], off offset:2496
	ds_store_b128 v136, v[0:3]
	ds_load_b128 v[0:3], v136 offset:1248
	ds_load_b128 v[16:19], v11 offset:12480
	global_load_b128 v[20:23], v[4:5], off offset:3744
	s_wait_dscnt 0x0
	v_add_f64_e32 v[24:25], v[0:1], v[16:17]
	v_add_f64_e32 v[26:27], v[18:19], v[2:3]
	v_add_f64_e64 v[28:29], v[0:1], -v[16:17]
	v_add_f64_e64 v[0:1], v[2:3], -v[18:19]
	s_wait_loadcnt 0x2
	s_delay_alu instid0(VALU_DEP_2) | instskip(NEXT) | instid1(VALU_DEP_2)
	v_fma_f64 v[2:3], v[28:29], v[8:9], v[24:25]
	v_fma_f64 v[16:17], v[26:27], v[8:9], v[0:1]
	v_fma_f64 v[18:19], -v[28:29], v[8:9], v[24:25]
	v_fma_f64 v[8:9], v[26:27], v[8:9], -v[0:1]
	s_delay_alu instid0(VALU_DEP_4) | instskip(NEXT) | instid1(VALU_DEP_4)
	v_fma_f64 v[0:1], -v[26:27], v[6:7], v[2:3]
	v_fma_f64 v[2:3], v[28:29], v[6:7], v[16:17]
	s_delay_alu instid0(VALU_DEP_4) | instskip(NEXT) | instid1(VALU_DEP_4)
	v_fma_f64 v[16:17], v[26:27], v[6:7], v[18:19]
	v_fma_f64 v[18:19], v[28:29], v[6:7], v[8:9]
	ds_store_b128 v136, v[0:3] offset:1248
	ds_store_b128 v11, v[16:19] offset:12480
	ds_load_b128 v[0:3], v136 offset:2496
	ds_load_b128 v[6:9], v11 offset:11232
	global_load_b128 v[16:19], v[4:5], off offset:4992
	s_wait_dscnt 0x0
	v_add_f64_e32 v[24:25], v[0:1], v[6:7]
	v_add_f64_e32 v[26:27], v[8:9], v[2:3]
	v_add_f64_e64 v[28:29], v[0:1], -v[6:7]
	v_add_f64_e64 v[0:1], v[2:3], -v[8:9]
	s_wait_loadcnt 0x2
	s_delay_alu instid0(VALU_DEP_2) | instskip(NEXT) | instid1(VALU_DEP_2)
	v_fma_f64 v[2:3], v[28:29], v[14:15], v[24:25]
	v_fma_f64 v[6:7], v[26:27], v[14:15], v[0:1]
	v_fma_f64 v[8:9], -v[28:29], v[14:15], v[24:25]
	v_fma_f64 v[14:15], v[26:27], v[14:15], -v[0:1]
	s_delay_alu instid0(VALU_DEP_4) | instskip(NEXT) | instid1(VALU_DEP_4)
	v_fma_f64 v[0:1], -v[26:27], v[12:13], v[2:3]
	v_fma_f64 v[2:3], v[28:29], v[12:13], v[6:7]
	s_delay_alu instid0(VALU_DEP_4) | instskip(NEXT) | instid1(VALU_DEP_4)
	v_fma_f64 v[6:7], v[26:27], v[12:13], v[8:9]
	v_fma_f64 v[8:9], v[28:29], v[12:13], v[14:15]
	ds_store_b128 v136, v[0:3] offset:2496
	ds_store_b128 v11, v[6:9] offset:11232
	ds_load_b128 v[0:3], v136 offset:3744
	ds_load_b128 v[6:9], v11 offset:9984
	s_wait_dscnt 0x0
	v_add_f64_e32 v[12:13], v[0:1], v[6:7]
	v_add_f64_e32 v[14:15], v[8:9], v[2:3]
	v_add_f64_e64 v[24:25], v[0:1], -v[6:7]
	v_add_f64_e64 v[0:1], v[2:3], -v[8:9]
	s_wait_loadcnt 0x1
	s_delay_alu instid0(VALU_DEP_2) | instskip(NEXT) | instid1(VALU_DEP_2)
	v_fma_f64 v[2:3], v[24:25], v[22:23], v[12:13]
	v_fma_f64 v[6:7], v[14:15], v[22:23], v[0:1]
	v_fma_f64 v[8:9], -v[24:25], v[22:23], v[12:13]
	v_fma_f64 v[12:13], v[14:15], v[22:23], -v[0:1]
	s_delay_alu instid0(VALU_DEP_4) | instskip(NEXT) | instid1(VALU_DEP_4)
	v_fma_f64 v[0:1], -v[14:15], v[20:21], v[2:3]
	v_fma_f64 v[2:3], v[24:25], v[20:21], v[6:7]
	s_delay_alu instid0(VALU_DEP_4) | instskip(NEXT) | instid1(VALU_DEP_4)
	v_fma_f64 v[6:7], v[14:15], v[20:21], v[8:9]
	v_fma_f64 v[8:9], v[24:25], v[20:21], v[12:13]
	ds_store_b128 v136, v[0:3] offset:3744
	ds_store_b128 v11, v[6:9] offset:9984
	ds_load_b128 v[0:3], v136 offset:4992
	ds_load_b128 v[6:9], v11 offset:8736
	s_wait_dscnt 0x0
	v_add_f64_e32 v[12:13], v[0:1], v[6:7]
	v_add_f64_e32 v[14:15], v[8:9], v[2:3]
	v_add_f64_e64 v[20:21], v[0:1], -v[6:7]
	v_add_f64_e64 v[0:1], v[2:3], -v[8:9]
	s_wait_loadcnt 0x0
	s_delay_alu instid0(VALU_DEP_2) | instskip(NEXT) | instid1(VALU_DEP_2)
	v_fma_f64 v[2:3], v[20:21], v[18:19], v[12:13]
	v_fma_f64 v[6:7], v[14:15], v[18:19], v[0:1]
	v_fma_f64 v[8:9], -v[20:21], v[18:19], v[12:13]
	v_fma_f64 v[12:13], v[14:15], v[18:19], -v[0:1]
	s_delay_alu instid0(VALU_DEP_4) | instskip(NEXT) | instid1(VALU_DEP_4)
	v_fma_f64 v[0:1], -v[14:15], v[16:17], v[2:3]
	v_fma_f64 v[2:3], v[20:21], v[16:17], v[6:7]
	s_delay_alu instid0(VALU_DEP_4) | instskip(NEXT) | instid1(VALU_DEP_4)
	v_fma_f64 v[6:7], v[14:15], v[16:17], v[8:9]
	v_fma_f64 v[8:9], v[20:21], v[16:17], v[12:13]
	ds_store_b128 v136, v[0:3] offset:4992
	ds_store_b128 v11, v[6:9] offset:8736
	v_cmpx_gt_u32_e32 39, v58
	s_cbranch_execz .LBB0_20
; %bb.19:
	global_load_b128 v[0:3], v[4:5], off offset:6240
	ds_load_b128 v[4:7], v136 offset:6240
	ds_load_b128 v[12:15], v11 offset:7488
	s_wait_dscnt 0x0
	v_add_f64_e32 v[8:9], v[4:5], v[12:13]
	v_add_f64_e32 v[16:17], v[14:15], v[6:7]
	v_add_f64_e64 v[12:13], v[4:5], -v[12:13]
	v_add_f64_e64 v[4:5], v[6:7], -v[14:15]
	s_wait_loadcnt 0x0
	s_delay_alu instid0(VALU_DEP_2) | instskip(NEXT) | instid1(VALU_DEP_2)
	v_fma_f64 v[6:7], v[12:13], v[2:3], v[8:9]
	v_fma_f64 v[14:15], v[16:17], v[2:3], v[4:5]
	v_fma_f64 v[8:9], -v[12:13], v[2:3], v[8:9]
	v_fma_f64 v[18:19], v[16:17], v[2:3], -v[4:5]
	s_delay_alu instid0(VALU_DEP_4) | instskip(NEXT) | instid1(VALU_DEP_4)
	v_fma_f64 v[2:3], -v[16:17], v[0:1], v[6:7]
	v_fma_f64 v[4:5], v[12:13], v[0:1], v[14:15]
	s_delay_alu instid0(VALU_DEP_4) | instskip(NEXT) | instid1(VALU_DEP_4)
	v_fma_f64 v[6:7], v[16:17], v[0:1], v[8:9]
	v_fma_f64 v[8:9], v[12:13], v[0:1], v[18:19]
	ds_store_b128 v136, v[2:5] offset:6240
	ds_store_b128 v11, v[6:9] offset:7488
.LBB0_20:
	s_wait_alu 0xfffe
	s_or_b32 exec_lo, exec_lo, s1
	v_add3_u32 v59, 0, v10, v135
	global_wb scope:SCOPE_SE
	s_wait_dscnt 0x0
	s_barrier_signal -1
	s_barrier_wait -1
	global_inv scope:SCOPE_SE
	global_wb scope:SCOPE_SE
	s_barrier_signal -1
	s_barrier_wait -1
	global_inv scope:SCOPE_SE
	ds_load_b128 v[4:7], v59 offset:12672
	ds_load_b128 v[44:47], v59 offset:1056
	ds_load_b128 v[20:23], v136
	ds_load_b128 v[8:11], v59 offset:11616
	ds_load_b128 v[52:55], v59 offset:2112
	s_mov_b32 s4, 0x1ea71119
	s_mov_b32 s28, 0x42a4c3d2
	s_mov_b32 s5, 0x3fe22d96
	s_mov_b32 s29, 0xbfea55e2
	ds_load_b128 v[48:51], v59 offset:3168
	ds_load_b128 v[12:15], v59 offset:10560
	s_mov_b32 s10, 0xb2365da1
	s_mov_b32 s22, 0x2ef20147
	s_mov_b32 s11, 0xbfd6b1d8
	s_mov_b32 s23, 0xbfedeba7
	;; [unrolled: 6-line block ×3, first 2 shown]
	ds_load_b128 v[28:31], v59 offset:5280
	ds_load_b128 v[24:27], v59 offset:8448
	s_mov_b32 s30, 0x24c2f84
	s_mov_b32 s14, 0xd0032e0c
	s_wait_dscnt 0x9
	v_add_f64_e64 v[96:97], v[46:47], -v[6:7]
	v_add_f64_e32 v[76:77], v[46:47], v[6:7]
	v_add_f64_e32 v[78:79], v[44:45], v[4:5]
	v_add_f64_e64 v[104:105], v[44:45], -v[4:5]
	s_wait_dscnt 0x6
	v_add_f64_e64 v[130:131], v[54:55], -v[10:11]
	v_add_f64_e32 v[82:83], v[54:55], v[10:11]
	v_add_f64_e32 v[80:81], v[52:53], v[8:9]
	v_add_f64_e64 v[132:133], v[52:53], -v[8:9]
	s_wait_dscnt 0x4
	v_add_f64_e64 v[106:107], v[50:51], -v[14:15]
	v_add_f64_e32 v[74:75], v[50:51], v[14:15]
	v_add_f64_e32 v[88:89], v[48:49], v[12:13]
	v_add_f64_e64 v[118:119], v[48:49], -v[12:13]
	s_wait_dscnt 0x2
	v_add_f64_e64 v[84:85], v[42:43], -v[18:19]
	v_add_f64_e32 v[68:69], v[42:43], v[18:19]
	s_mov_b32 s31, 0x3fe5384d
	s_mov_b32 s15, 0xbfe7f3cc
	v_add_f64_e32 v[72:73], v[40:41], v[16:17]
	v_add_f64_e64 v[92:93], v[40:41], -v[16:17]
	s_wait_dscnt 0x0
	v_add_f64_e64 v[86:87], v[30:31], -v[26:27]
	v_add_f64_e32 v[64:65], v[30:31], v[26:27]
	s_mov_b32 s16, 0xebaa3ed8
	s_mov_b32 s17, 0x3fbedb7d
	s_mov_b32 s21, 0x3fefc445
	s_mov_b32 s20, 0x66966769
	v_add_f64_e32 v[70:71], v[28:29], v[24:25]
	v_add_f64_e64 v[108:109], v[28:29], -v[24:25]
	s_mov_b32 s18, 0xe00740e9
	s_mov_b32 s19, 0x3fec55a7
	;; [unrolled: 1-line block ×4, first 2 shown]
	s_mov_b32 s33, exec_lo
	s_wait_alu 0xfffe
	v_mul_f64_e32 v[98:99], s[28:29], v[96:97]
	v_mul_f64_e32 v[100:101], s[4:5], v[76:77]
	;; [unrolled: 1-line block ×10, first 2 shown]
	v_fma_f64 v[0:1], v[78:79], s[4:5], -v[98:99]
	v_fma_f64 v[2:3], v[104:105], s[28:29], v[100:101]
	v_fma_f64 v[32:33], v[80:81], s[10:11], -v[90:91]
	v_fma_f64 v[34:35], v[132:133], s[22:23], v[94:95]
	;; [unrolled: 2-line block ×5, first 2 shown]
	v_add_f64_e32 v[0:1], v[20:21], v[0:1]
	v_add_f64_e32 v[2:3], v[22:23], v[2:3]
	s_delay_alu instid0(VALU_DEP_2) | instskip(NEXT) | instid1(VALU_DEP_2)
	v_add_f64_e32 v[0:1], v[32:33], v[0:1]
	v_add_f64_e32 v[2:3], v[34:35], v[2:3]
	ds_load_b128 v[36:39], v59 offset:6336
	ds_load_b128 v[32:35], v59 offset:7392
	global_wb scope:SCOPE_SE
	s_wait_dscnt 0x0
	s_barrier_signal -1
	s_barrier_wait -1
	global_inv scope:SCOPE_SE
	v_add_f64_e64 v[102:103], v[38:39], -v[34:35]
	v_add_f64_e32 v[62:63], v[38:39], v[34:35]
	v_add_f64_e32 v[0:1], v[66:67], v[0:1]
	;; [unrolled: 1-line block ×4, first 2 shown]
	v_add_f64_e64 v[110:111], v[36:37], -v[32:33]
	v_mul_f64_e32 v[126:127], s[26:27], v[102:103]
	v_mul_f64_e32 v[128:129], s[18:19], v[62:63]
	v_add_f64_e32 v[0:1], v[137:138], v[0:1]
	v_add_f64_e32 v[2:3], v[139:140], v[2:3]
	s_delay_alu instid0(VALU_DEP_4) | instskip(NEXT) | instid1(VALU_DEP_4)
	v_fma_f64 v[137:138], v[66:67], s[18:19], -v[126:127]
	v_fma_f64 v[139:140], v[110:111], s[26:27], v[128:129]
	s_delay_alu instid0(VALU_DEP_4) | instskip(NEXT) | instid1(VALU_DEP_4)
	v_add_f64_e32 v[0:1], v[141:142], v[0:1]
	v_add_f64_e32 v[2:3], v[143:144], v[2:3]
	s_delay_alu instid0(VALU_DEP_2) | instskip(NEXT) | instid1(VALU_DEP_2)
	v_add_f64_e32 v[0:1], v[137:138], v[0:1]
	v_add_f64_e32 v[2:3], v[139:140], v[2:3]
	v_cmpx_gt_u32_e32 0x42, v58
	s_cbranch_execz .LBB0_22
; %bb.21:
	v_add_f64_e32 v[46:47], v[22:23], v[46:47]
	v_add_f64_e32 v[44:45], v[20:21], v[44:45]
	v_mul_f64_e32 v[143:144], s[28:29], v[104:105]
	v_mul_f64_e32 v[151:152], s[24:25], v[104:105]
	;; [unrolled: 1-line block ×4, first 2 shown]
	s_mov_b32 s1, 0xbfe5384d
	s_mov_b32 s0, s30
	v_mul_f64_e32 v[155:156], s[20:21], v[132:133]
	v_mul_f64_e32 v[157:158], s[20:21], v[130:131]
	;; [unrolled: 1-line block ×12, first 2 shown]
	s_wait_alu 0xfffe
	v_mul_f64_e32 v[217:218], s[0:1], v[96:97]
	v_mul_f64_e32 v[147:148], s[26:27], v[110:111]
	;; [unrolled: 1-line block ×14, first 2 shown]
	s_mov_b32 s37, 0x3fedeba7
	s_mov_b32 s36, s22
	v_mul_f64_e32 v[201:202], s[28:29], v[118:119]
	v_mul_f64_e32 v[203:204], s[28:29], v[106:107]
	v_add_f64_e32 v[137:138], v[46:47], v[54:55]
	v_add_f64_e32 v[139:140], v[44:45], v[52:53]
	v_mul_f64_e32 v[54:55], s[20:21], v[110:111]
	v_mul_f64_e32 v[44:45], s[20:21], v[102:103]
	s_mov_b32 s21, 0xbfefc445
	v_mul_f64_e32 v[52:53], s[26:27], v[108:109]
	s_wait_alu 0xfffe
	v_mul_f64_e32 v[215:216], s[20:21], v[104:105]
	v_mul_f64_e32 v[219:220], s[20:21], v[96:97]
	v_mul_f64_e32 v[46:47], s[26:27], v[86:87]
	v_add_f64_e64 v[100:101], v[100:101], -v[143:144]
	v_fma_f64 v[143:144], v[76:77], s[12:13], v[151:152]
	v_fma_f64 v[151:152], v[76:77], s[12:13], -v[151:152]
	v_fma_f64 v[231:232], v[78:79], s[12:13], -v[165:166]
	v_fma_f64 v[165:166], v[78:79], s[12:13], v[165:166]
	v_add_f64_e32 v[98:99], v[141:142], v[98:99]
	v_fma_f64 v[141:142], v[76:77], s[10:11], v[161:162]
	v_fma_f64 v[161:162], v[76:77], s[10:11], -v[161:162]
	v_fma_f64 v[233:234], v[78:79], s[10:11], -v[167:168]
	v_fma_f64 v[167:168], v[78:79], s[10:11], v[167:168]
	v_add_f64_e64 v[120:121], v[120:121], -v[169:170]
	v_add_f64_e64 v[114:115], v[114:115], -v[171:172]
	v_add_f64_e32 v[122:123], v[177:178], v[122:123]
	v_add_f64_e32 v[116:117], v[179:180], v[116:117]
	v_fma_f64 v[169:170], v[82:83], s[12:13], v[187:188]
	v_fma_f64 v[171:172], v[82:83], s[12:13], -v[187:188]
	v_fma_f64 v[177:178], v[80:81], s[14:15], -v[189:190]
	v_fma_f64 v[179:180], v[80:81], s[14:15], v[189:190]
	v_fma_f64 v[187:188], v[78:79], s[14:15], v[217:218]
	v_add_f64_e64 v[128:129], v[128:129], -v[147:148]
	v_add_f64_e64 v[124:125], v[124:125], -v[145:146]
	v_fma_f64 v[145:146], v[82:83], s[16:17], v[155:156]
	v_fma_f64 v[147:148], v[82:83], s[16:17], -v[155:156]
	v_fma_f64 v[155:156], v[82:83], s[14:15], -v[185:186]
	v_mul_f64_e32 v[221:222], s[0:1], v[118:119]
	v_mul_f64_e32 v[223:224], s[36:37], v[118:119]
	v_mul_f64_e32 v[118:119], s[20:21], v[118:119]
	v_mul_f64_e32 v[225:226], s[0:1], v[106:107]
	v_mul_f64_e32 v[227:228], s[36:37], v[106:107]
	v_add_f64_e32 v[137:138], v[137:138], v[50:51]
	v_add_f64_e32 v[139:140], v[139:140], v[48:49]
	v_mul_f64_e32 v[50:51], s[26:27], v[92:93]
	v_mul_f64_e32 v[48:49], s[26:27], v[84:85]
	s_mov_b32 s27, 0xbfddbe06
	v_mul_f64_e32 v[106:107], s[20:21], v[106:107]
	s_wait_alu 0xfffe
	v_mul_f64_e32 v[104:105], s[26:27], v[104:105]
	v_mul_f64_e32 v[96:97], s[26:27], v[96:97]
	v_fma_f64 v[189:190], v[76:77], s[16:17], v[215:216]
	v_fma_f64 v[215:216], v[76:77], s[16:17], -v[215:216]
	v_add_f64_e64 v[94:95], v[94:95], -v[173:174]
	v_fma_f64 v[173:174], v[82:83], s[4:5], v[132:133]
	v_add_f64_e32 v[143:144], v[22:23], v[143:144]
	v_add_f64_e32 v[231:232], v[20:21], v[231:232]
	;; [unrolled: 1-line block ×10, first 2 shown]
	v_fma_f64 v[175:176], v[80:81], s[16:17], -v[157:158]
	v_fma_f64 v[157:158], v[80:81], s[16:17], v[157:158]
	v_add_f64_e32 v[233:234], v[20:21], v[233:234]
	s_mov_b32 s31, 0x3fea55e2
	s_mov_b32 s30, s28
	v_add_f64_e32 v[187:188], v[20:21], v[187:188]
	s_mov_b32 s35, 0x3fcea1e5
	s_mov_b32 s34, s24
	v_mul_f64_e32 v[193:194], s[22:23], v[92:93]
	v_mul_f64_e32 v[195:196], s[22:23], v[84:85]
	s_wait_alu 0xfffe
	v_mul_f64_e32 v[229:230], s[30:31], v[92:93]
	v_fma_f64 v[237:238], v[88:89], s[18:19], -v[163:164]
	v_fma_f64 v[163:164], v[88:89], s[18:19], v[163:164]
	v_fma_f64 v[239:240], v[74:75], s[14:15], v[221:222]
	v_fma_f64 v[221:222], v[74:75], s[14:15], -v[221:222]
	v_mul_f64_e32 v[205:206], s[22:23], v[108:109]
	v_add_f64_e32 v[42:43], v[137:138], v[42:43]
	v_add_f64_e32 v[40:41], v[139:140], v[40:41]
	v_mul_f64_e32 v[137:138], s[28:29], v[108:109]
	v_mul_f64_e32 v[139:140], s[22:23], v[86:87]
	;; [unrolled: 1-line block ×5, first 2 shown]
	v_fma_f64 v[235:236], v[78:79], s[18:19], -v[96:97]
	v_add_f64_e32 v[189:190], v[22:23], v[189:190]
	v_add_f64_e32 v[215:216], v[22:23], v[215:216]
	v_mul_f64_e32 v[209:210], s[22:23], v[102:103]
	v_mul_f64_e32 v[211:212], s[24:25], v[102:103]
	v_add_f64_e32 v[155:156], v[155:156], v[161:162]
	v_add_f64_e32 v[167:168], v[179:180], v[167:168]
	;; [unrolled: 1-line block ×3, first 2 shown]
	v_fma_f64 v[161:162], v[68:69], s[18:19], v[50:51]
	v_fma_f64 v[50:51], v[68:69], s[18:19], -v[50:51]
	v_fma_f64 v[100:101], v[72:73], s[18:19], -v[48:49]
	v_fma_f64 v[48:49], v[72:73], s[18:19], v[48:49]
	v_add_f64_e32 v[177:178], v[177:178], v[233:234]
	v_mul_f64_e32 v[233:234], s[30:31], v[102:103]
	v_mul_f64_e32 v[102:103], s[0:1], v[102:103]
	v_add_f64_e32 v[157:158], v[157:158], v[187:188]
	v_fma_f64 v[179:180], v[68:69], s[10:11], v[193:194]
	v_fma_f64 v[193:194], v[68:69], s[10:11], -v[193:194]
	v_add_f64_e32 v[30:31], v[42:43], v[30:31]
	v_add_f64_e32 v[28:29], v[40:41], v[28:29]
	v_add_f64_e32 v[42:43], v[183:184], v[90:91]
	v_fma_f64 v[183:184], v[78:79], s[14:15], -v[217:218]
	v_fma_f64 v[217:218], v[78:79], s[16:17], v[219:220]
	v_add_f64_e32 v[40:41], v[181:182], v[112:113]
	v_fma_f64 v[90:91], v[82:83], s[18:19], v[149:150]
	v_fma_f64 v[112:113], v[82:83], s[18:19], -v[149:150]
	v_fma_f64 v[149:150], v[82:83], s[14:15], v[185:186]
	v_fma_f64 v[181:182], v[76:77], s[14:15], v[213:214]
	v_fma_f64 v[185:186], v[76:77], s[14:15], -v[213:214]
	v_fma_f64 v[213:214], v[78:79], s[16:17], -v[219:220]
	v_fma_f64 v[219:220], v[76:77], s[18:19], v[104:105]
	v_fma_f64 v[76:77], v[76:77], s[18:19], -v[104:105]
	v_fma_f64 v[78:79], v[78:79], s[18:19], v[96:97]
	v_fma_f64 v[82:83], v[82:83], s[4:5], -v[132:133]
	v_fma_f64 v[132:133], v[80:81], s[18:19], -v[153:154]
	v_fma_f64 v[153:154], v[80:81], s[18:19], v[153:154]
	v_fma_f64 v[104:105], v[80:81], s[12:13], v[191:192]
	v_fma_f64 v[96:97], v[80:81], s[12:13], -v[191:192]
	v_fma_f64 v[191:192], v[80:81], s[4:5], -v[130:131]
	v_fma_f64 v[80:81], v[80:81], s[4:5], v[130:131]
	v_add_f64_e32 v[235:236], v[20:21], v[235:236]
	v_fma_f64 v[130:131], v[74:75], s[4:5], v[201:202]
	v_fma_f64 v[201:202], v[74:75], s[4:5], -v[201:202]
	v_add_f64_e32 v[171:172], v[171:172], v[215:216]
	v_add_f64_e32 v[169:170], v[169:170], v[189:190]
	;; [unrolled: 1-line block ×3, first 2 shown]
	v_fma_f64 v[215:216], v[64:65], s[10:11], v[205:206]
	v_fma_f64 v[205:206], v[64:65], s[10:11], -v[205:206]
	v_add_f64_e32 v[30:31], v[30:31], v[38:39]
	v_add_f64_e32 v[28:29], v[28:29], v[36:37]
	v_fma_f64 v[36:37], v[74:75], s[18:19], v[159:160]
	v_add_f64_e32 v[183:184], v[20:21], v[183:184]
	v_add_f64_e32 v[217:218], v[20:21], v[217:218]
	v_fma_f64 v[38:39], v[74:75], s[18:19], -v[159:160]
	v_fma_f64 v[159:160], v[88:89], s[4:5], -v[203:204]
	v_fma_f64 v[203:204], v[88:89], s[4:5], v[203:204]
	v_add_f64_e32 v[90:91], v[90:91], v[143:144]
	v_add_f64_e32 v[181:182], v[22:23], v[181:182]
	;; [unrolled: 1-line block ×7, first 2 shown]
	v_fma_f64 v[76:77], v[74:75], s[10:11], v[223:224]
	v_fma_f64 v[78:79], v[74:75], s[10:11], -v[223:224]
	v_fma_f64 v[223:224], v[74:75], s[16:17], v[118:119]
	v_fma_f64 v[74:75], v[74:75], s[16:17], -v[118:119]
	v_fma_f64 v[118:119], v[88:89], s[14:15], -v[225:226]
	v_fma_f64 v[225:226], v[88:89], s[14:15], v[225:226]
	v_mul_f64_e32 v[143:144], s[30:31], v[84:85]
	v_add_f64_e32 v[132:133], v[132:133], v[231:232]
	v_mul_f64_e32 v[231:232], s[34:35], v[84:85]
	v_mul_f64_e32 v[84:85], s[20:21], v[84:85]
	v_add_f64_e32 v[112:113], v[112:113], v[151:152]
	v_add_f64_e32 v[153:154], v[153:154], v[165:166]
	;; [unrolled: 1-line block ×4, first 2 shown]
	v_mul_f64_e32 v[165:166], s[34:35], v[108:109]
	v_mul_f64_e32 v[108:109], s[0:1], v[108:109]
	v_mul_f64_e32 v[149:150], s[34:35], v[86:87]
	v_mul_f64_e32 v[86:87], s[0:1], v[86:87]
	v_fma_f64 v[98:99], v[72:73], s[10:11], -v[195:196]
	v_fma_f64 v[195:196], v[72:73], s[10:11], v[195:196]
	v_mul_f64_e32 v[151:152], s[30:31], v[110:111]
	v_mul_f64_e32 v[110:111], s[0:1], v[110:111]
	v_add_f64_e32 v[30:31], v[30:31], v[34:35]
	v_add_f64_e32 v[28:29], v[28:29], v[32:33]
	v_fma_f64 v[32:33], v[88:89], s[10:11], -v[227:228]
	v_fma_f64 v[34:35], v[88:89], s[10:11], v[227:228]
	v_fma_f64 v[227:228], v[88:89], s[16:17], -v[106:107]
	v_fma_f64 v[88:89], v[88:89], s[16:17], v[106:107]
	v_mul_f64_e32 v[106:107], s[34:35], v[92:93]
	v_mul_f64_e32 v[92:93], s[20:21], v[92:93]
	v_add_f64_e32 v[104:105], v[104:105], v[217:218]
	v_add_f64_e32 v[145:146], v[145:146], v[181:182]
	v_add_f64_e32 v[147:148], v[147:148], v[185:186]
	v_add_f64_e32 v[175:176], v[175:176], v[183:184]
	v_add_f64_e32 v[96:97], v[96:97], v[213:214]
	v_add_f64_e32 v[22:23], v[82:83], v[22:23]
	v_add_f64_e32 v[20:21], v[80:81], v[20:21]
	v_add_f64_e32 v[173:174], v[173:174], v[219:220]
	v_fma_f64 v[80:81], v[64:65], s[4:5], -v[137:138]
	v_fma_f64 v[82:83], v[68:69], s[4:5], v[229:230]
	v_add_f64_e32 v[38:39], v[38:39], v[155:156]
	v_add_f64_e32 v[78:79], v[78:79], v[171:172]
	;; [unrolled: 1-line block ×3, first 2 shown]
	v_fma_f64 v[217:218], v[64:65], s[18:19], v[52:53]
	v_fma_f64 v[52:53], v[64:65], s[18:19], -v[52:53]
	v_fma_f64 v[213:214], v[72:73], s[12:13], v[231:232]
	v_fma_f64 v[219:220], v[72:73], s[16:17], -v[84:85]
	v_add_f64_e32 v[112:113], v[221:222], v[112:113]
	v_fma_f64 v[181:182], v[62:63], s[16:17], v[54:55]
	v_add_f64_e32 v[36:37], v[36:37], v[141:142]
	v_add_f64_e32 v[141:142], v[163:164], v[167:168]
	;; [unrolled: 1-line block ×3, first 2 shown]
	v_fma_f64 v[54:55], v[62:63], s[16:17], -v[54:55]
	v_fma_f64 v[183:184], v[62:63], s[10:11], v[197:198]
	v_fma_f64 v[155:156], v[70:71], s[14:15], -v[86:87]
	v_fma_f64 v[197:198], v[62:63], s[10:11], -v[197:198]
	v_fma_f64 v[185:186], v[62:63], s[12:13], v[199:200]
	v_fma_f64 v[199:200], v[62:63], s[12:13], -v[199:200]
	v_add_f64_e32 v[26:27], v[30:31], v[26:27]
	v_add_f64_e32 v[24:25], v[28:29], v[24:25]
	;; [unrolled: 1-line block ×3, first 2 shown]
	v_fma_f64 v[30:31], v[64:65], s[4:5], v[137:138]
	v_fma_f64 v[137:138], v[68:69], s[4:5], -v[229:230]
	v_fma_f64 v[191:192], v[72:73], s[12:13], -v[231:232]
	v_fma_f64 v[187:188], v[68:69], s[12:13], v[106:107]
	v_fma_f64 v[106:107], v[68:69], s[12:13], -v[106:107]
	v_fma_f64 v[189:190], v[68:69], s[16:17], v[92:93]
	v_fma_f64 v[68:69], v[68:69], s[16:17], -v[92:93]
	v_fma_f64 v[92:93], v[72:73], s[4:5], -v[143:144]
	v_fma_f64 v[143:144], v[72:73], s[4:5], v[143:144]
	v_fma_f64 v[72:73], v[72:73], s[16:17], v[84:85]
	v_add_f64_e32 v[84:85], v[239:240], v[90:91]
	v_add_f64_e32 v[90:91], v[118:119], v[132:133]
	;; [unrolled: 1-line block ×13, first 2 shown]
	v_fma_f64 v[74:75], v[70:71], s[18:19], -v[46:47]
	v_fma_f64 v[46:47], v[70:71], s[18:19], v[46:47]
	v_fma_f64 v[88:89], v[70:71], s[4:5], -v[207:208]
	v_fma_f64 v[145:146], v[64:65], s[12:13], v[165:166]
	v_fma_f64 v[147:148], v[64:65], s[12:13], -v[165:166]
	v_fma_f64 v[153:154], v[64:65], s[14:15], v[108:109]
	v_fma_f64 v[64:65], v[64:65], s[14:15], -v[108:109]
	v_fma_f64 v[108:109], v[70:71], s[12:13], -v[149:150]
	v_fma_f64 v[149:150], v[70:71], s[12:13], v[149:150]
	v_add_f64_e32 v[40:41], v[116:117], v[40:41]
	v_add_f64_e32 v[50:51], v[50:51], v[78:79]
	;; [unrolled: 1-line block ×6, first 2 shown]
	v_fma_f64 v[26:27], v[70:71], s[10:11], -v[139:140]
	v_fma_f64 v[28:29], v[70:71], s[10:11], v[139:140]
	v_fma_f64 v[139:140], v[70:71], s[4:5], v[207:208]
	;; [unrolled: 1-line block ×3, first 2 shown]
	v_add_f64_e32 v[86:87], v[137:138], v[112:113]
	v_add_f64_e32 v[36:37], v[189:190], v[36:37]
	v_add_f64_e32 v[38:39], v[68:69], v[38:39]
	v_fma_f64 v[112:113], v[62:63], s[4:5], -v[151:152]
	v_fma_f64 v[116:117], v[66:67], s[4:5], v[233:234]
	v_add_f64_e32 v[68:69], v[72:73], v[141:142]
	v_add_f64_e32 v[82:83], v[82:83], v[84:85]
	;; [unrolled: 1-line block ×15, first 2 shown]
	v_fma_f64 v[96:97], v[66:67], s[10:11], v[209:210]
	v_fma_f64 v[100:101], v[66:67], s[12:13], v[211:212]
	;; [unrolled: 1-line block ×4, first 2 shown]
	v_fma_f64 v[62:63], v[62:63], s[14:15], -v[110:111]
	v_fma_f64 v[110:111], v[66:67], s[4:5], -v[233:234]
	;; [unrolled: 1-line block ×3, first 2 shown]
	v_add_f64_e32 v[40:41], v[122:123], v[40:41]
	v_add_f64_e32 v[50:51], v[80:81], v[50:51]
	;; [unrolled: 1-line block ×5, first 2 shown]
	v_fma_f64 v[24:25], v[66:67], s[16:17], v[44:45]
	v_fma_f64 v[18:19], v[66:67], s[16:17], -v[44:45]
	v_fma_f64 v[44:45], v[66:67], s[10:11], -v[209:210]
	v_fma_f64 v[98:99], v[66:67], s[12:13], -v[211:212]
	v_fma_f64 v[66:67], v[66:67], s[14:15], v[102:103]
	v_add_f64_e32 v[36:37], v[145:146], v[36:37]
	v_add_f64_e32 v[38:39], v[147:148], v[38:39]
	v_add_f64_e32 v[68:69], v[149:150], v[68:69]
	v_add_f64_e32 v[82:83], v[215:216], v[82:83]
	v_add_f64_e32 v[26:27], v[26:27], v[84:85]
	v_add_f64_e32 v[84:85], v[205:206], v[86:87]
	v_add_f64_e32 v[28:29], v[28:29], v[90:91]
	v_add_f64_e32 v[72:73], v[124:125], v[72:73]
	v_add_f64_e32 v[80:81], v[139:140], v[34:35]
	v_add_f64_e32 v[52:53], v[52:53], v[106:107]
	v_add_f64_e32 v[46:47], v[46:47], v[48:49]
	v_add_f64_e32 v[86:87], v[108:109], v[92:93]
	v_add_f64_e32 v[42:43], v[217:218], v[42:43]
	v_add_f64_e32 v[74:75], v[74:75], v[94:95]
	v_add_f64_e32 v[48:49], v[30:31], v[76:77]
	v_add_f64_e32 v[76:77], v[88:89], v[32:33]
	v_add_f64_e32 v[64:65], v[64:65], v[22:23]
	v_add_f64_e32 v[70:71], v[70:71], v[20:21]
	v_add_f64_e32 v[78:79], v[153:154], v[78:79]
	v_add_f64_e32 v[88:89], v[14:15], v[10:11]
	v_add_f64_e32 v[90:91], v[12:13], v[8:9]
	v_add_f64_e32 v[92:93], v[155:156], v[16:17]
	v_add_f64_e32 v[22:23], v[112:113], v[38:39]
	v_add_f64_e32 v[38:39], v[62:63], v[50:51]
	v_add_f64_e32 v[20:21], v[116:117], v[68:69]
	v_add_f64_e32 v[10:11], v[181:182], v[82:83]
	v_add_f64_e32 v[8:9], v[18:19], v[26:27]
	v_add_f64_e32 v[14:15], v[54:55], v[84:85]
	v_add_f64_e32 v[12:13], v[24:25], v[28:29]
	v_add_f64_e32 v[26:27], v[128:129], v[72:73]
	v_add_f64_e32 v[24:25], v[126:127], v[40:41]
	v_add_f64_e32 v[18:19], v[104:105], v[36:37]
	v_add_f64_e32 v[36:37], v[66:67], v[80:81]
	v_add_f64_e32 v[34:35], v[197:198], v[52:53]
	v_add_f64_e32 v[32:33], v[96:97], v[46:47]
	v_add_f64_e32 v[16:17], v[110:111], v[86:87]
	v_add_f64_e32 v[30:31], v[183:184], v[42:43]
	v_add_f64_e32 v[28:29], v[44:45], v[74:75]
	v_add_f64_e32 v[42:43], v[114:115], v[48:49]
	v_add_f64_e32 v[40:41], v[118:119], v[76:77]
	v_add_f64_e32 v[50:51], v[199:200], v[64:65]
	v_add_f64_e32 v[48:49], v[100:101], v[70:71]
	v_add_f64_e32 v[46:47], v[185:186], v[78:79]
	v_mul_u32_u24_e32 v52, 0xd0, v58
	s_delay_alu instid0(VALU_DEP_1)
	v_add3_u32 v52, 0, v52, v135
	v_add_f64_e32 v[6:7], v[88:89], v[6:7]
	v_add_f64_e32 v[4:5], v[90:91], v[4:5]
	;; [unrolled: 1-line block ×3, first 2 shown]
	ds_store_b128 v52, v[12:15] offset:96
	ds_store_b128 v52, v[8:11] offset:112
	;; [unrolled: 1-line block ×11, first 2 shown]
	ds_store_b128 v52, v[4:7]
	ds_store_b128 v52, v[44:47] offset:192
.LBB0_22:
	s_or_b32 exec_lo, exec_lo, s33
	v_and_b32_e32 v4, 0xff, v58
	global_wb scope:SCOPE_SE
	s_wait_dscnt 0x0
	s_barrier_signal -1
	s_barrier_wait -1
	global_inv scope:SCOPE_SE
	v_mul_lo_u16 v4, 0x4f, v4
	s_mov_b32 s0, 0xf8bb580b
	s_mov_b32 s4, 0x8764f0ba
	;; [unrolled: 1-line block ×4, first 2 shown]
	v_lshrrev_b16 v28, 10, v4
	s_mov_b32 s1, 0xbfe14ced
	s_mov_b32 s5, 0x3feaeb8c
	;; [unrolled: 1-line block ×4, first 2 shown]
	v_mul_lo_u16 v4, v28, 13
	s_mov_b32 s18, 0x43842ef
	s_mov_b32 s20, 0x640f44db
	;; [unrolled: 1-line block ×4, first 2 shown]
	v_sub_nc_u16 v4, v58, v4
	s_mov_b32 s24, 0xbb3a28a1
	s_mov_b32 s26, 0x7f775887
	;; [unrolled: 1-line block ×4, first 2 shown]
	v_and_b32_e32 v29, 0xff, v4
	s_mov_b32 s30, 0xfd768dbf
	s_mov_b32 s34, 0x9bcd5057
	;; [unrolled: 1-line block ×4, first 2 shown]
	v_mul_u32_u24_e32 v4, 10, v29
	s_mov_b32 s11, 0x3fe14ced
	s_mov_b32 s17, 0x3fed1bb4
	s_wait_alu 0xfffe
	s_mov_b32 s10, s0
	s_mov_b32 s16, s12
	v_lshlrev_b32_e32 v8, 4, v4
	s_mov_b32 s23, 0x3fefac9e
	s_mov_b32 s37, 0x3fd207e7
	;; [unrolled: 1-line block ×4, first 2 shown]
	s_clause 0x9
	global_load_b128 v[4:7], v8, s[8:9]
	global_load_b128 v[10:13], v8, s[8:9] offset:144
	global_load_b128 v[14:17], v8, s[8:9] offset:16
	global_load_b128 v[18:21], v8, s[8:9] offset:128
	global_load_b128 v[22:25], v8, s[8:9] offset:32
	global_load_b128 v[30:33], v8, s[8:9] offset:112
	global_load_b128 v[34:37], v8, s[8:9] offset:48
	global_load_b128 v[38:41], v8, s[8:9] offset:96
	global_load_b128 v[42:45], v8, s[8:9] offset:64
	global_load_b128 v[46:49], v8, s[8:9] offset:80
	ds_load_b128 v[50:53], v59 offset:1248
	ds_load_b128 v[62:65], v59 offset:12480
	;; [unrolled: 1-line block ×9, first 2 shown]
	s_mov_b32 s29, 0x3fe82f19
	s_mov_b32 s28, s24
	s_wait_loadcnt_dscnt 0x908
	v_mul_f64_e32 v[8:9], v[52:53], v[6:7]
	v_mul_f64_e32 v[6:7], v[50:51], v[6:7]
	s_wait_loadcnt_dscnt 0x807
	v_mul_f64_e32 v[26:27], v[62:63], v[12:13]
	s_wait_loadcnt_dscnt 0x706
	v_mul_f64_e32 v[54:55], v[66:67], v[16:17]
	v_mul_f64_e32 v[16:17], v[68:69], v[16:17]
	s_wait_loadcnt_dscnt 0x504
	v_mul_f64_e32 v[100:101], v[74:75], v[24:25]
	s_wait_loadcnt_dscnt 0x403
	v_mul_f64_e32 v[102:103], v[78:79], v[32:33]
	v_mul_f64_e32 v[104:105], v[64:65], v[12:13]
	;; [unrolled: 1-line block ×4, first 2 shown]
	s_wait_loadcnt_dscnt 0x200
	v_mul_f64_e32 v[110:111], v[92:93], v[40:41]
	v_mul_f64_e32 v[40:41], v[90:91], v[40:41]
	v_mul_f64_e32 v[94:95], v[70:71], v[20:21]
	v_mul_f64_e32 v[20:21], v[72:73], v[20:21]
	v_mul_f64_e32 v[108:109], v[84:85], v[36:37]
	v_mul_f64_e32 v[36:37], v[82:83], v[36:37]
	s_wait_loadcnt 0x1
	v_mul_f64_e32 v[112:113], v[88:89], v[44:45]
	v_mul_f64_e32 v[44:45], v[86:87], v[44:45]
	v_fma_f64 v[96:97], v[50:51], v[4:5], v[8:9]
	v_fma_f64 v[98:99], v[52:53], v[4:5], -v[6:7]
	ds_load_b128 v[50:53], v59 offset:7488
	ds_load_b128 v[4:7], v136
	v_fma_f64 v[24:25], v[64:65], v[10:11], -v[26:27]
	v_fma_f64 v[54:55], v[68:69], v[14:15], -v[54:55]
	v_fma_f64 v[16:17], v[66:67], v[14:15], v[16:17]
	v_fma_f64 v[68:69], v[76:77], v[22:23], -v[100:101]
	v_fma_f64 v[12:13], v[80:81], v[30:31], -v[102:103]
	v_fma_f64 v[22:23], v[74:75], v[22:23], v[106:107]
	v_fma_f64 v[14:15], v[78:79], v[30:31], v[32:33]
	;; [unrolled: 1-line block ×3, first 2 shown]
	v_fma_f64 v[32:33], v[92:93], v[38:39], -v[40:41]
	v_fma_f64 v[8:9], v[72:73], v[18:19], -v[94:95]
	v_fma_f64 v[26:27], v[62:63], v[10:11], v[104:105]
	v_fma_f64 v[10:11], v[70:71], v[18:19], v[20:21]
	;; [unrolled: 1-line block ×3, first 2 shown]
	v_fma_f64 v[20:21], v[84:85], v[34:35], -v[36:37]
	v_fma_f64 v[34:35], v[86:87], v[42:43], v[112:113]
	v_fma_f64 v[36:37], v[88:89], v[42:43], -v[44:45]
	global_wb scope:SCOPE_SE
	s_wait_loadcnt_dscnt 0x0
	s_barrier_signal -1
	v_mul_f64_e32 v[114:115], v[52:53], v[48:49]
	v_mul_f64_e32 v[48:49], v[50:51], v[48:49]
	s_barrier_wait -1
	global_inv scope:SCOPE_SE
	v_add_f64_e32 v[64:65], v[4:5], v[96:97]
	v_add_f64_e32 v[66:67], v[6:7], v[98:99]
	v_add_f64_e64 v[42:43], v[98:99], -v[24:25]
	v_add_f64_e32 v[44:45], v[98:99], v[24:25]
	v_add_f64_e32 v[62:63], v[68:69], v[12:13]
	;; [unrolled: 1-line block ×3, first 2 shown]
	v_add_f64_e64 v[74:75], v[22:23], -v[14:15]
	v_add_f64_e32 v[70:71], v[16:17], v[10:11]
	v_add_f64_e32 v[76:77], v[18:19], v[30:31]
	;; [unrolled: 1-line block ×3, first 2 shown]
	v_add_f64_e64 v[80:81], v[20:21], -v[32:33]
	v_add_f64_e64 v[82:83], v[18:19], -v[30:31]
	v_fma_f64 v[38:39], v[50:51], v[46:47], v[114:115]
	v_fma_f64 v[40:41], v[52:53], v[46:47], -v[48:49]
	v_add_f64_e64 v[46:47], v[54:55], -v[8:9]
	v_add_f64_e32 v[48:49], v[54:55], v[8:9]
	v_add_f64_e32 v[50:51], v[64:65], v[16:17]
	;; [unrolled: 1-line block ×4, first 2 shown]
	v_add_f64_e64 v[66:67], v[96:97], -v[26:27]
	v_mul_f64_e32 v[92:93], s[0:1], v[42:43]
	v_mul_f64_e32 v[94:95], s[4:5], v[44:45]
	;; [unrolled: 1-line block ×10, first 2 shown]
	v_add_f64_e64 v[54:55], v[68:69], -v[12:13]
	v_add_f64_e64 v[16:17], v[16:17], -v[10:11]
	v_mul_f64_e32 v[122:123], s[20:21], v[62:63]
	v_mul_f64_e32 v[126:127], s[34:35], v[62:63]
	;; [unrolled: 1-line block ×6, first 2 shown]
	v_add_f64_e32 v[84:85], v[34:35], v[38:39]
	v_add_f64_e32 v[86:87], v[36:37], v[40:41]
	v_mul_f64_e32 v[108:109], s[12:13], v[46:47]
	v_mul_f64_e32 v[110:111], s[14:15], v[48:49]
	;; [unrolled: 1-line block ×4, first 2 shown]
	s_wait_alu 0xfffe
	v_mul_f64_e32 v[116:117], s[22:23], v[46:47]
	v_mul_f64_e32 v[118:119], s[20:21], v[48:49]
	v_add_f64_e64 v[88:89], v[34:35], -v[38:39]
	v_add_f64_e64 v[90:91], v[36:37], -v[40:41]
	v_mul_f64_e32 v[141:142], s[26:27], v[78:79]
	v_mul_f64_e32 v[143:144], s[22:23], v[80:81]
	;; [unrolled: 1-line block ×6, first 2 shown]
	v_add_f64_e32 v[22:23], v[50:51], v[22:23]
	v_add_f64_e32 v[50:51], v[52:53], v[68:69]
	v_mul_f64_e32 v[52:53], s[26:27], v[48:49]
	v_mul_f64_e32 v[68:69], s[36:37], v[46:47]
	;; [unrolled: 1-line block ×4, first 2 shown]
	v_fma_f64 v[171:172], v[64:65], s[14:15], v[96:97]
	v_fma_f64 v[173:174], v[66:67], s[16:17], v[98:99]
	v_fma_f64 v[96:97], v[64:65], s[14:15], -v[96:97]
	v_fma_f64 v[175:176], v[64:65], s[20:21], v[100:101]
	v_fma_f64 v[177:178], v[66:67], s[22:23], v[102:103]
	v_fma_f64 v[100:101], v[64:65], s[20:21], -v[100:101]
	;; [unrolled: 3-line block ×4, first 2 shown]
	v_fma_f64 v[44:45], v[66:67], s[30:31], v[44:45]
	v_fma_f64 v[106:107], v[66:67], s[24:25], v[106:107]
	;; [unrolled: 1-line block ×4, first 2 shown]
	v_mul_f64_e32 v[120:121], s[18:19], v[54:55]
	v_mul_f64_e32 v[157:158], s[34:35], v[86:87]
	;; [unrolled: 1-line block ×6, first 2 shown]
	v_fma_f64 v[187:188], v[70:71], s[26:27], v[112:113]
	v_mul_f64_e32 v[128:129], s[16:17], v[54:55]
	v_fma_f64 v[112:113], v[70:71], s[26:27], -v[112:113]
	v_fma_f64 v[193:194], v[16:17], s[30:31], v[114:115]
	v_mul_f64_e32 v[132:133], s[0:1], v[54:55]
	v_fma_f64 v[195:196], v[70:71], s[20:21], v[116:117]
	v_fma_f64 v[197:198], v[16:17], s[18:19], v[118:119]
	v_mul_f64_e32 v[54:55], s[24:25], v[54:55]
	v_fma_f64 v[116:117], v[70:71], s[20:21], -v[116:117]
	v_fma_f64 v[114:115], v[16:17], s[36:37], v[114:115]
	v_add_f64_e32 v[18:19], v[22:23], v[18:19]
	v_add_f64_e32 v[20:21], v[50:51], v[20:21]
	v_mul_f64_e32 v[22:23], s[20:21], v[86:87]
	v_fma_f64 v[50:51], v[64:65], s[4:5], v[92:93]
	v_fma_f64 v[86:87], v[66:67], s[10:11], v[94:95]
	v_fma_f64 v[92:93], v[64:65], s[4:5], -v[92:93]
	v_fma_f64 v[94:95], v[66:67], s[0:1], v[94:95]
	v_fma_f64 v[64:65], v[70:71], s[14:15], v[108:109]
	;; [unrolled: 1-line block ×3, first 2 shown]
	v_fma_f64 v[108:109], v[70:71], s[14:15], -v[108:109]
	v_fma_f64 v[110:111], v[16:17], s[12:13], v[110:111]
	v_fma_f64 v[189:190], v[16:17], s[28:29], v[52:53]
	v_add_f64_e32 v[171:172], v[4:5], v[171:172]
	v_add_f64_e32 v[173:174], v[6:7], v[173:174]
	v_fma_f64 v[191:192], v[70:71], s[34:35], v[68:69]
	v_add_f64_e32 v[96:97], v[4:5], v[96:97]
	v_add_f64_e32 v[175:176], v[4:5], v[175:176]
	;; [unrolled: 1-line block ×3, first 2 shown]
	v_fma_f64 v[68:69], v[70:71], s[34:35], -v[68:69]
	v_add_f64_e32 v[100:101], v[4:5], v[100:101]
	v_add_f64_e32 v[179:180], v[4:5], v[179:180]
	;; [unrolled: 1-line block ×6, first 2 shown]
	v_fma_f64 v[52:53], v[16:17], s[24:25], v[52:53]
	v_add_f64_e32 v[102:103], v[6:7], v[102:103]
	v_add_f64_e32 v[98:99], v[6:7], v[98:99]
	v_fma_f64 v[199:200], v[72:73], s[34:35], v[124:125]
	v_fma_f64 v[201:202], v[74:75], s[30:31], v[126:127]
	;; [unrolled: 1-line block ×4, first 2 shown]
	v_mul_f64_e32 v[153:154], s[34:35], v[78:79]
	v_fma_f64 v[128:129], v[72:73], s[14:15], -v[128:129]
	v_mul_f64_e32 v[80:81], s[16:17], v[80:81]
	v_mul_f64_e32 v[78:79], s[14:15], v[78:79]
	v_fma_f64 v[130:131], v[74:75], s[16:17], v[130:131]
	v_fma_f64 v[124:125], v[72:73], s[34:35], -v[124:125]
	v_add_f64_e32 v[18:19], v[18:19], v[34:35]
	v_add_f64_e32 v[20:21], v[20:21], v[36:37]
	v_fma_f64 v[34:35], v[16:17], s[22:23], v[118:119]
	v_add_f64_e32 v[50:51], v[4:5], v[50:51]
	v_fma_f64 v[36:37], v[70:71], s[4:5], v[46:47]
	v_add_f64_e32 v[92:93], v[4:5], v[92:93]
	v_add_f64_e32 v[94:95], v[6:7], v[94:95]
	v_fma_f64 v[118:119], v[16:17], s[0:1], v[48:49]
	v_fma_f64 v[46:47], v[70:71], s[4:5], -v[46:47]
	v_fma_f64 v[16:17], v[16:17], s[10:11], v[48:49]
	v_add_f64_e32 v[4:5], v[4:5], v[42:43]
	v_add_f64_e32 v[42:43], v[6:7], v[44:45]
	;; [unrolled: 1-line block ×4, first 2 shown]
	v_fma_f64 v[48:49], v[72:73], s[20:21], v[120:121]
	v_fma_f64 v[70:71], v[74:75], s[22:23], v[122:123]
	v_fma_f64 v[120:121], v[72:73], s[20:21], -v[120:121]
	v_fma_f64 v[122:123], v[74:75], s[18:19], v[122:123]
	v_add_f64_e32 v[96:97], v[112:113], v[96:97]
	v_add_f64_e32 v[112:113], v[193:194], v[177:178]
	;; [unrolled: 1-line block ×4, first 2 shown]
	v_fma_f64 v[86:87], v[72:73], s[4:5], -v[132:133]
	v_fma_f64 v[106:107], v[74:75], s[0:1], v[137:138]
	v_add_f64_e32 v[104:105], v[116:117], v[104:105]
	v_fma_f64 v[126:127], v[74:75], s[36:37], v[126:127]
	v_mul_f64_e32 v[159:160], s[10:11], v[90:91]
	v_fma_f64 v[207:208], v[76:77], s[20:21], v[143:144]
	v_fma_f64 v[209:210], v[82:83], s[18:19], v[145:146]
	v_mul_f64_e32 v[155:156], s[30:31], v[90:91]
	v_mul_f64_e32 v[163:164], s[24:25], v[90:91]
	;; [unrolled: 1-line block ×4, first 2 shown]
	v_fma_f64 v[143:144], v[76:77], s[20:21], -v[143:144]
	v_fma_f64 v[145:146], v[82:83], s[22:23], v[145:146]
	v_add_f64_e32 v[18:19], v[18:19], v[38:39]
	v_add_f64_e32 v[20:21], v[20:21], v[40:41]
	v_fma_f64 v[38:39], v[72:73], s[4:5], v[132:133]
	v_add_f64_e32 v[50:51], v[64:65], v[50:51]
	v_fma_f64 v[40:41], v[74:75], s[10:11], v[137:138]
	v_add_f64_e32 v[64:65], v[108:109], v[92:93]
	v_add_f64_e32 v[92:93], v[110:111], v[94:95]
	;; [unrolled: 1-line block ×6, first 2 shown]
	v_fma_f64 v[132:133], v[72:73], s[26:27], v[54:55]
	v_fma_f64 v[137:138], v[74:75], s[28:29], v[62:63]
	v_add_f64_e32 v[36:37], v[36:37], v[183:184]
	v_add_f64_e32 v[116:117], v[118:119], v[185:186]
	v_fma_f64 v[54:55], v[72:73], s[26:27], -v[54:55]
	v_fma_f64 v[62:63], v[74:75], s[24:25], v[62:63]
	v_add_f64_e32 v[4:5], v[46:47], v[4:5]
	v_add_f64_e32 v[16:17], v[16:17], v[42:43]
	;; [unrolled: 1-line block ×6, first 2 shown]
	v_fma_f64 v[72:73], v[76:77], s[26:27], v[139:140]
	v_fma_f64 v[74:75], v[82:83], s[28:29], v[141:142]
	v_fma_f64 v[139:140], v[76:77], s[26:27], -v[139:140]
	v_fma_f64 v[141:142], v[82:83], s[24:25], v[141:142]
	v_fma_f64 v[46:47], v[76:77], s[4:5], -v[147:148]
	v_fma_f64 v[66:67], v[76:77], s[34:35], v[151:152]
	v_fma_f64 v[98:99], v[82:83], s[36:37], v[153:154]
	v_add_f64_e32 v[68:69], v[128:129], v[68:69]
	v_fma_f64 v[118:119], v[76:77], s[14:15], v[80:81]
	v_fma_f64 v[102:103], v[76:77], s[34:35], -v[151:152]
	v_fma_f64 v[114:115], v[82:83], s[30:31], v[153:154]
	v_add_f64_e32 v[86:87], v[86:87], v[104:105]
	v_fma_f64 v[52:53], v[82:83], s[0:1], v[149:150]
	v_add_f64_e32 v[96:97], v[124:125], v[96:97]
	;; [unrolled: 2-line block ×3, first 2 shown]
	v_add_f64_e32 v[20:21], v[20:21], v[32:33]
	v_fma_f64 v[30:31], v[76:77], s[4:5], v[147:148]
	v_add_f64_e32 v[48:49], v[48:49], v[50:51]
	v_fma_f64 v[32:33], v[82:83], s[10:11], v[149:150]
	v_add_f64_e32 v[50:51], v[120:121], v[64:65]
	v_add_f64_e32 v[64:65], v[122:123], v[92:93]
	;; [unrolled: 1-line block ×8, first 2 shown]
	v_fma_f64 v[147:148], v[82:83], s[12:13], v[78:79]
	v_add_f64_e32 v[36:37], v[132:133], v[36:37]
	v_add_f64_e32 v[100:101], v[137:138], v[116:117]
	v_fma_f64 v[76:77], v[76:77], s[14:15], -v[80:81]
	v_fma_f64 v[78:79], v[82:83], s[16:17], v[78:79]
	v_add_f64_e32 v[4:5], v[54:55], v[4:5]
	v_add_f64_e32 v[16:17], v[62:63], v[16:17]
	v_add_f64_e32 v[34:35], v[106:107], v[34:35]
	v_add_f64_e32 v[42:43], v[130:131], v[42:43]
	v_add_f64_e32 v[44:45], v[126:127], v[44:45]
	v_add_f64_e32 v[6:7], v[70:71], v[6:7]
	v_fma_f64 v[54:55], v[88:89], s[0:1], v[161:162]
	v_fma_f64 v[80:81], v[84:85], s[34:35], v[155:156]
	v_fma_f64 v[149:150], v[84:85], s[34:35], -v[155:156]
	v_fma_f64 v[62:63], v[84:85], s[4:5], -v[159:160]
	v_fma_f64 v[106:107], v[88:89], s[28:29], v[165:166]
	v_fma_f64 v[112:113], v[84:85], s[26:27], -v[163:164]
	v_fma_f64 v[120:121], v[84:85], s[14:15], v[167:168]
	;; [unrolled: 2-line block ×3, first 2 shown]
	v_fma_f64 v[122:123], v[88:89], s[12:13], v[169:170]
	v_add_f64_e32 v[46:47], v[46:47], v[68:69]
	v_fma_f64 v[130:131], v[88:89], s[22:23], v[22:23]
	v_fma_f64 v[22:23], v[88:89], s[18:19], v[22:23]
	;; [unrolled: 1-line block ×3, first 2 shown]
	v_add_f64_e32 v[14:15], v[18:19], v[14:15]
	v_add_f64_e32 v[12:13], v[20:21], v[12:13]
	v_fma_f64 v[20:21], v[84:85], s[4:5], v[159:160]
	v_add_f64_e32 v[18:19], v[72:73], v[48:49]
	v_fma_f64 v[84:85], v[84:85], s[20:21], -v[90:91]
	v_add_f64_e32 v[48:49], v[139:140], v[50:51]
	v_add_f64_e32 v[50:51], v[141:142], v[64:65]
	;; [unrolled: 1-line block ×11, first 2 shown]
	v_fma_f64 v[116:117], v[88:89], s[24:25], v[165:166]
	v_fma_f64 v[82:83], v[88:89], s[36:37], v[157:158]
	v_add_f64_e32 v[4:5], v[76:77], v[4:5]
	v_add_f64_e32 v[76:77], v[78:79], v[16:17]
	;; [unrolled: 1-line block ×4, first 2 shown]
	v_fma_f64 v[151:152], v[88:89], s[30:31], v[157:158]
	v_fma_f64 v[70:71], v[88:89], s[10:11], v[161:162]
	v_add_f64_e32 v[88:89], v[143:144], v[96:97]
	v_add_f64_e32 v[96:97], v[145:146], v[44:45]
	;; [unrolled: 1-line block ×3, first 2 shown]
	v_cmp_gt_u32_e64 s0, 0x41, v58
	v_add_f64_e32 v[98:99], v[14:15], v[10:11]
	v_add_f64_e32 v[100:101], v[12:13], v[8:9]
	;; [unrolled: 1-line block ×24, first 2 shown]
	v_and_b32_e32 v24, 0xffff, v28
	v_lshlrev_b32_e32 v25, 4, v29
	s_delay_alu instid0(VALU_DEP_2) | instskip(NEXT) | instid1(VALU_DEP_1)
	v_mad_u32_u24 v24, 0x8f0, v24, 0
	v_add3_u32 v24, v24, v25, v135
	ds_store_b128 v24, v[34:37] offset:416
	ds_store_b128 v24, v[38:41] offset:624
	ds_store_b128 v24, v[42:45] offset:832
	ds_store_b128 v24, v[46:49] offset:1040
	ds_store_b128 v24, v[4:7] offset:1248
	ds_store_b128 v24, v[8:11] offset:1456
	ds_store_b128 v24, v[12:15] offset:1664
	ds_store_b128 v24, v[20:23] offset:1872
	ds_store_b128 v24, v[16:19] offset:2080
	ds_store_b128 v24, v[50:53]
	ds_store_b128 v24, v[30:33] offset:208
	global_wb scope:SCOPE_SE
	s_wait_dscnt 0x0
	s_barrier_signal -1
	s_barrier_wait -1
	global_inv scope:SCOPE_SE
	ds_load_b128 v[24:27], v136
	ds_load_b128 v[28:31], v59 offset:2288
	ds_load_b128 v[32:35], v59 offset:4576
	;; [unrolled: 1-line block ×5, first 2 shown]
	s_and_saveexec_b32 s1, s0
	s_cbranch_execz .LBB0_24
; %bb.23:
	ds_load_b128 v[4:7], v59 offset:1248
	ds_load_b128 v[8:11], v59 offset:3536
	;; [unrolled: 1-line block ×6, first 2 shown]
.LBB0_24:
	s_wait_alu 0xfffe
	s_or_b32 exec_lo, exec_lo, s1
	v_mul_u32_u24_e32 v48, 5, v58
	s_mov_b32 s4, 0xe8584caa
	s_mov_b32 s5, 0xbfebb67a
	;; [unrolled: 1-line block ×3, first 2 shown]
	s_wait_alu 0xfffe
	s_mov_b32 s10, s4
	v_lshlrev_b32_e32 v70, 4, v48
	s_clause 0x4
	global_load_b128 v[48:51], v70, s[8:9] offset:2112
	global_load_b128 v[52:55], v70, s[8:9] offset:2144
	;; [unrolled: 1-line block ×5, first 2 shown]
	global_wb scope:SCOPE_SE
	s_wait_loadcnt_dscnt 0x0
	s_barrier_signal -1
	s_barrier_wait -1
	global_inv scope:SCOPE_SE
	v_mul_f64_e32 v[74:75], v[40:41], v[50:51]
	v_mul_f64_e32 v[76:77], v[44:45], v[54:55]
	;; [unrolled: 1-line block ×6, first 2 shown]
	v_fma_f64 v[42:43], v[42:43], v[48:49], -v[74:75]
	v_fma_f64 v[46:47], v[46:47], v[52:53], -v[76:77]
	v_mul_f64_e32 v[74:75], v[34:35], v[68:69]
	v_mul_f64_e32 v[68:69], v[32:33], v[68:69]
	;; [unrolled: 1-line block ×4, first 2 shown]
	v_fma_f64 v[40:41], v[40:41], v[48:49], v[50:51]
	v_fma_f64 v[44:45], v[44:45], v[52:53], v[54:55]
	v_fma_f64 v[30:31], v[30:31], v[62:63], -v[78:79]
	v_fma_f64 v[28:29], v[28:29], v[62:63], v[64:65]
	v_add_f64_e32 v[48:49], v[42:43], v[46:47]
	v_fma_f64 v[32:33], v[32:33], v[66:67], v[74:75]
	v_fma_f64 v[34:35], v[34:35], v[66:67], -v[68:69]
	v_fma_f64 v[36:37], v[36:37], v[70:71], v[76:77]
	v_fma_f64 v[38:39], v[38:39], v[70:71], -v[72:73]
	v_add_f64_e64 v[64:65], v[42:43], -v[46:47]
	v_add_f64_e32 v[50:51], v[40:41], v[44:45]
	v_add_f64_e64 v[52:53], v[40:41], -v[44:45]
	v_fma_f64 v[48:49], v[48:49], -0.5, v[30:31]
	v_add_f64_e32 v[30:31], v[30:31], v[42:43]
	v_add_f64_e32 v[54:55], v[32:33], v[36:37]
	;; [unrolled: 1-line block ×3, first 2 shown]
	v_add_f64_e64 v[68:69], v[34:35], -v[38:39]
	v_fma_f64 v[50:51], v[50:51], -0.5, v[28:29]
	v_add_f64_e32 v[34:35], v[26:27], v[34:35]
	v_add_f64_e32 v[28:29], v[28:29], v[40:41]
	s_wait_alu 0xfffe
	v_fma_f64 v[66:67], v[52:53], s[10:11], v[48:49]
	v_fma_f64 v[48:49], v[52:53], s[4:5], v[48:49]
	v_add_f64_e32 v[52:53], v[24:25], v[32:33]
	v_add_f64_e64 v[32:33], v[32:33], -v[36:37]
	v_fma_f64 v[24:25], v[54:55], -0.5, v[24:25]
	v_fma_f64 v[26:27], v[62:63], -0.5, v[26:27]
	v_fma_f64 v[40:41], v[64:65], s[4:5], v[50:51]
	v_fma_f64 v[42:43], v[64:65], s[10:11], v[50:51]
	v_add_f64_e32 v[34:35], v[34:35], v[38:39]
	v_add_f64_e32 v[28:29], v[28:29], v[44:45]
	;; [unrolled: 1-line block ×3, first 2 shown]
	v_mul_f64_e32 v[50:51], s[4:5], v[66:67]
	v_mul_f64_e32 v[62:63], 0.5, v[66:67]
	v_mul_f64_e32 v[54:55], s[4:5], v[48:49]
	v_mul_f64_e32 v[48:49], -0.5, v[48:49]
	v_add_f64_e32 v[36:37], v[52:53], v[36:37]
	v_fma_f64 v[44:45], v[68:69], s[4:5], v[24:25]
	v_fma_f64 v[52:53], v[32:33], s[10:11], v[26:27]
	;; [unrolled: 1-line block ×4, first 2 shown]
	v_add_f64_e32 v[26:27], v[34:35], v[30:31]
	v_add_f64_e64 v[30:31], v[34:35], -v[30:31]
	v_fma_f64 v[50:51], v[40:41], 0.5, v[50:51]
	v_fma_f64 v[62:63], v[40:41], s[10:11], v[62:63]
	v_fma_f64 v[54:55], v[42:43], -0.5, v[54:55]
	v_fma_f64 v[48:49], v[42:43], s[10:11], v[48:49]
	v_add_f64_e32 v[24:25], v[36:37], v[28:29]
	v_add_f64_e64 v[28:29], v[36:37], -v[28:29]
	v_add_f64_e32 v[32:33], v[44:45], v[50:51]
	v_add_f64_e32 v[34:35], v[52:53], v[62:63]
	;; [unrolled: 1-line block ×4, first 2 shown]
	v_add_f64_e64 v[40:41], v[44:45], -v[50:51]
	v_add_f64_e64 v[42:43], v[52:53], -v[62:63]
	;; [unrolled: 1-line block ×4, first 2 shown]
	ds_store_b128 v59, v[24:27]
	ds_store_b128 v59, v[32:35] offset:2288
	ds_store_b128 v59, v[36:39] offset:4576
	;; [unrolled: 1-line block ×5, first 2 shown]
	s_and_saveexec_b32 s1, s0
	s_cbranch_execz .LBB0_26
; %bb.25:
	v_add_nc_u32_e32 v24, 0x4e, v58
	v_add_nc_u32_e32 v25, 0xffffffbf, v58
	s_delay_alu instid0(VALU_DEP_1) | instskip(SKIP_1) | instid1(VALU_DEP_2)
	v_cndmask_b32_e64 v24, v25, v24, s0
	v_mov_b32_e32 v25, 0
	v_mul_i32_i24_e32 v24, 5, v24
	s_delay_alu instid0(VALU_DEP_1) | instskip(NEXT) | instid1(VALU_DEP_1)
	v_lshlrev_b64_e32 v[24:25], 4, v[24:25]
	v_add_co_u32 v40, s0, s8, v24
	s_wait_alu 0xf1ff
	s_delay_alu instid0(VALU_DEP_2)
	v_add_co_ci_u32_e64 v41, s0, s9, v25, s0
	s_clause 0x4
	global_load_b128 v[24:27], v[40:41], off offset:2112
	global_load_b128 v[28:31], v[40:41], off offset:2144
	;; [unrolled: 1-line block ×5, first 2 shown]
	s_wait_loadcnt 0x4
	v_mul_f64_e32 v[44:45], v[20:21], v[26:27]
	s_wait_loadcnt 0x3
	v_mul_f64_e32 v[46:47], v[0:1], v[30:31]
	v_mul_f64_e32 v[26:27], v[22:23], v[26:27]
	;; [unrolled: 1-line block ×3, first 2 shown]
	s_wait_loadcnt 0x2
	v_mul_f64_e32 v[48:49], v[8:9], v[34:35]
	v_mul_f64_e32 v[34:35], v[10:11], v[34:35]
	v_fma_f64 v[22:23], v[22:23], v[24:25], -v[44:45]
	v_fma_f64 v[2:3], v[2:3], v[28:29], -v[46:47]
	s_wait_loadcnt 0x1
	v_mul_f64_e32 v[44:45], v[12:13], v[38:39]
	s_wait_loadcnt 0x0
	v_mul_f64_e32 v[46:47], v[16:17], v[42:43]
	v_mul_f64_e32 v[38:39], v[14:15], v[38:39]
	;; [unrolled: 1-line block ×3, first 2 shown]
	v_fma_f64 v[20:21], v[20:21], v[24:25], v[26:27]
	v_fma_f64 v[0:1], v[0:1], v[28:29], v[30:31]
	v_fma_f64 v[10:11], v[10:11], v[32:33], -v[48:49]
	v_fma_f64 v[8:9], v[8:9], v[32:33], v[34:35]
	v_add_f64_e32 v[24:25], v[22:23], v[2:3]
	v_fma_f64 v[14:15], v[14:15], v[36:37], -v[44:45]
	v_fma_f64 v[18:19], v[18:19], v[40:41], -v[46:47]
	v_fma_f64 v[12:13], v[12:13], v[36:37], v[38:39]
	v_fma_f64 v[16:17], v[16:17], v[40:41], v[42:43]
	v_add_f64_e64 v[32:33], v[22:23], -v[2:3]
	v_add_f64_e32 v[26:27], v[20:21], v[0:1]
	v_add_f64_e64 v[28:29], v[20:21], -v[0:1]
	v_fma_f64 v[24:25], v[24:25], -0.5, v[10:11]
	v_add_f64_e32 v[38:39], v[6:7], v[14:15]
	v_add_f64_e32 v[30:31], v[14:15], v[18:19]
	v_add_f64_e32 v[10:11], v[10:11], v[22:23]
	v_add_f64_e32 v[34:35], v[12:13], v[16:17]
	v_add_f64_e64 v[14:15], v[14:15], -v[18:19]
	v_fma_f64 v[26:27], v[26:27], -0.5, v[8:9]
	v_add_f64_e32 v[8:9], v[8:9], v[20:21]
	v_fma_f64 v[36:37], v[28:29], s[4:5], v[24:25]
	v_fma_f64 v[24:25], v[28:29], s[10:11], v[24:25]
	v_add_f64_e64 v[28:29], v[12:13], -v[16:17]
	v_add_f64_e32 v[12:13], v[4:5], v[12:13]
	v_fma_f64 v[6:7], v[30:31], -0.5, v[6:7]
	v_fma_f64 v[4:5], v[34:35], -0.5, v[4:5]
	v_fma_f64 v[20:21], v[32:33], s[10:11], v[26:27]
	v_fma_f64 v[26:27], v[32:33], s[4:5], v[26:27]
	v_add_f64_e32 v[18:19], v[38:39], v[18:19]
	v_add_f64_e32 v[10:11], v[10:11], v[2:3]
	;; [unrolled: 1-line block ×3, first 2 shown]
	v_mul_f64_e32 v[22:23], -0.5, v[36:37]
	v_mul_f64_e32 v[30:31], 0.5, v[24:25]
	v_mul_f64_e32 v[24:25], s[4:5], v[24:25]
	v_mul_f64_e32 v[32:33], s[4:5], v[36:37]
	v_add_f64_e32 v[12:13], v[12:13], v[16:17]
	v_fma_f64 v[16:17], v[28:29], s[4:5], v[6:7]
	v_fma_f64 v[28:29], v[28:29], s[10:11], v[6:7]
	v_fma_f64 v[36:37], v[14:15], s[4:5], v[4:5]
	v_fma_f64 v[34:35], v[14:15], s[10:11], v[4:5]
	v_add_f64_e32 v[6:7], v[18:19], v[10:11]
	v_add_f64_e64 v[2:3], v[18:19], -v[10:11]
	v_fma_f64 v[22:23], v[20:21], s[10:11], v[22:23]
	v_fma_f64 v[30:31], v[26:27], s[10:11], v[30:31]
	v_fma_f64 v[24:25], v[26:27], 0.5, v[24:25]
	v_fma_f64 v[26:27], v[20:21], -0.5, v[32:33]
	v_add_f64_e32 v[4:5], v[12:13], v[8:9]
	v_add_f64_e64 v[0:1], v[12:13], -v[8:9]
	v_add_f64_e64 v[10:11], v[16:17], -v[22:23]
	v_add_f64_e32 v[14:15], v[16:17], v[22:23]
	v_add_f64_e32 v[18:19], v[28:29], v[30:31]
	;; [unrolled: 1-line block ×4, first 2 shown]
	v_add_f64_e64 v[22:23], v[28:29], -v[30:31]
	v_add_f64_e64 v[20:21], v[36:37], -v[24:25]
	;; [unrolled: 1-line block ×3, first 2 shown]
	ds_store_b128 v59, v[4:7] offset:1248
	ds_store_b128 v59, v[16:19] offset:3536
	;; [unrolled: 1-line block ×6, first 2 shown]
.LBB0_26:
	s_wait_alu 0xfffe
	s_or_b32 exec_lo, exec_lo, s1
	global_wb scope:SCOPE_SE
	s_wait_dscnt 0x0
	s_barrier_signal -1
	s_barrier_wait -1
	global_inv scope:SCOPE_SE
	s_and_saveexec_b32 s0, vcc_lo
	s_cbranch_execz .LBB0_28
; %bb.27:
	v_mul_lo_u32 v2, s3, v60
	v_mul_lo_u32 v3, s2, v61
	v_mad_co_u64_u32 v[0:1], null, s2, v60, 0
	v_lshl_add_u32 v28, v58, 4, v134
	v_dual_mov_b32 v59, 0 :: v_dual_add_nc_u32 v12, 0x4e, v58
	v_lshlrev_b64_e32 v[8:9], 4, v[56:57]
	v_add_nc_u32_e32 v22, 0x186, v58
	s_delay_alu instid0(VALU_DEP_3) | instskip(SKIP_4) | instid1(VALU_DEP_4)
	v_dual_mov_b32 v25, v59 :: v_dual_add_nc_u32 v24, 0x1d4, v58
	v_add3_u32 v1, v1, v3, v2
	v_mov_b32_e32 v13, v59
	v_lshlrev_b64_e32 v[14:15], 4, v[58:59]
	v_mov_b32_e32 v23, v59
	v_lshlrev_b64_e32 v[10:11], 4, v[0:1]
	ds_load_b128 v[0:3], v28
	ds_load_b128 v[4:7], v28 offset:1248
	v_lshlrev_b64_e32 v[22:23], 4, v[22:23]
	v_add_co_u32 v10, vcc_lo, s6, v10
	s_wait_alu 0xfffd
	v_add_co_ci_u32_e32 v11, vcc_lo, s7, v11, vcc_lo
	s_delay_alu instid0(VALU_DEP_2) | instskip(SKIP_1) | instid1(VALU_DEP_2)
	v_add_co_u32 v30, vcc_lo, v10, v8
	s_wait_alu 0xfffd
	v_add_co_ci_u32_e32 v31, vcc_lo, v11, v9, vcc_lo
	v_lshlrev_b64_e32 v[8:9], 4, v[12:13]
	v_add_nc_u32_e32 v12, 0x9c, v58
	v_add_co_u32 v10, vcc_lo, v30, v14
	s_wait_alu 0xfffd
	v_add_co_ci_u32_e32 v11, vcc_lo, v31, v15, vcc_lo
	s_delay_alu instid0(VALU_DEP_4)
	v_add_co_u32 v8, vcc_lo, v30, v8
	s_wait_alu 0xfffd
	v_add_co_ci_u32_e32 v9, vcc_lo, v31, v9, vcc_lo
	s_wait_dscnt 0x1
	global_store_b128 v[10:11], v[0:3], off
	s_wait_dscnt 0x0
	global_store_b128 v[8:9], v[4:7], off
	v_lshlrev_b64_e32 v[0:1], 4, v[12:13]
	v_dual_mov_b32 v9, v59 :: v_dual_add_nc_u32 v8, 0xea, v58
	v_dual_mov_b32 v11, v59 :: v_dual_add_nc_u32 v10, 0x138, v58
	s_delay_alu instid0(VALU_DEP_3) | instskip(SKIP_1) | instid1(VALU_DEP_4)
	v_add_co_u32 v16, vcc_lo, v30, v0
	s_wait_alu 0xfffd
	v_add_co_ci_u32_e32 v17, vcc_lo, v31, v1, vcc_lo
	ds_load_b128 v[0:3], v28 offset:2496
	ds_load_b128 v[4:7], v28 offset:3744
	v_lshlrev_b64_e32 v[18:19], 4, v[8:9]
	v_lshlrev_b64_e32 v[20:21], 4, v[10:11]
	ds_load_b128 v[8:11], v28 offset:4992
	ds_load_b128 v[12:15], v28 offset:6240
	v_add_co_u32 v18, vcc_lo, v30, v18
	s_wait_alu 0xfffd
	v_add_co_ci_u32_e32 v19, vcc_lo, v31, v19, vcc_lo
	v_add_co_u32 v20, vcc_lo, v30, v20
	s_wait_alu 0xfffd
	v_add_co_ci_u32_e32 v21, vcc_lo, v31, v21, vcc_lo
	v_add_co_u32 v22, vcc_lo, v30, v22
	s_wait_dscnt 0x3
	global_store_b128 v[16:17], v[0:3], off
	s_wait_dscnt 0x2
	global_store_b128 v[18:19], v[4:7], off
	v_dual_mov_b32 v3, v59 :: v_dual_add_nc_u32 v2, 0x222, v58
	s_wait_alu 0xfffd
	v_add_co_ci_u32_e32 v23, vcc_lo, v31, v23, vcc_lo
	v_lshlrev_b64_e32 v[0:1], 4, v[24:25]
	s_wait_dscnt 0x1
	global_store_b128 v[20:21], v[8:11], off
	s_wait_dscnt 0x0
	global_store_b128 v[22:23], v[12:15], off
	v_lshlrev_b64_e32 v[8:9], 4, v[2:3]
	v_dual_mov_b32 v11, v59 :: v_dual_add_nc_u32 v10, 0x270, v58
	v_add_co_u32 v20, vcc_lo, v30, v0
	s_wait_alu 0xfffd
	v_add_co_ci_u32_e32 v21, vcc_lo, v31, v1, vcc_lo
	s_delay_alu instid0(VALU_DEP_4)
	v_add_co_u32 v22, vcc_lo, v30, v8
	ds_load_b128 v[0:3], v28 offset:7488
	ds_load_b128 v[4:7], v28 offset:8736
	s_wait_alu 0xfffd
	v_add_co_ci_u32_e32 v23, vcc_lo, v31, v9, vcc_lo
	v_lshlrev_b64_e32 v[26:27], 4, v[10:11]
	ds_load_b128 v[8:11], v28 offset:9984
	ds_load_b128 v[12:15], v28 offset:11232
	;; [unrolled: 1-line block ×3, first 2 shown]
	v_add_nc_u32_e32 v24, 0x2be, v58
	v_add_nc_u32_e32 v58, 0x30c, v58
	v_add_co_u32 v26, vcc_lo, v30, v26
	s_delay_alu instid0(VALU_DEP_3) | instskip(NEXT) | instid1(VALU_DEP_3)
	v_lshlrev_b64_e32 v[24:25], 4, v[24:25]
	v_lshlrev_b64_e32 v[28:29], 4, v[58:59]
	s_wait_alu 0xfffd
	v_add_co_ci_u32_e32 v27, vcc_lo, v31, v27, vcc_lo
	s_delay_alu instid0(VALU_DEP_3)
	v_add_co_u32 v24, vcc_lo, v30, v24
	s_wait_alu 0xfffd
	v_add_co_ci_u32_e32 v25, vcc_lo, v31, v25, vcc_lo
	v_add_co_u32 v28, vcc_lo, v30, v28
	s_wait_alu 0xfffd
	v_add_co_ci_u32_e32 v29, vcc_lo, v31, v29, vcc_lo
	s_wait_dscnt 0x4
	global_store_b128 v[20:21], v[0:3], off
	s_wait_dscnt 0x3
	global_store_b128 v[22:23], v[4:7], off
	;; [unrolled: 2-line block ×5, first 2 shown]
.LBB0_28:
	s_nop 0
	s_sendmsg sendmsg(MSG_DEALLOC_VGPRS)
	s_endpgm
	.section	.rodata,"a",@progbits
	.p2align	6, 0x0
	.amdhsa_kernel fft_rtc_back_len858_factors_13_11_6_wgs_234_tpt_78_halfLds_dp_op_CI_CI_unitstride_sbrr_C2R_dirReg
		.amdhsa_group_segment_fixed_size 0
		.amdhsa_private_segment_fixed_size 0
		.amdhsa_kernarg_size 104
		.amdhsa_user_sgpr_count 2
		.amdhsa_user_sgpr_dispatch_ptr 0
		.amdhsa_user_sgpr_queue_ptr 0
		.amdhsa_user_sgpr_kernarg_segment_ptr 1
		.amdhsa_user_sgpr_dispatch_id 0
		.amdhsa_user_sgpr_private_segment_size 0
		.amdhsa_wavefront_size32 1
		.amdhsa_uses_dynamic_stack 0
		.amdhsa_enable_private_segment 0
		.amdhsa_system_sgpr_workgroup_id_x 1
		.amdhsa_system_sgpr_workgroup_id_y 0
		.amdhsa_system_sgpr_workgroup_id_z 0
		.amdhsa_system_sgpr_workgroup_info 0
		.amdhsa_system_vgpr_workitem_id 0
		.amdhsa_next_free_vgpr 241
		.amdhsa_next_free_sgpr 39
		.amdhsa_reserve_vcc 1
		.amdhsa_float_round_mode_32 0
		.amdhsa_float_round_mode_16_64 0
		.amdhsa_float_denorm_mode_32 3
		.amdhsa_float_denorm_mode_16_64 3
		.amdhsa_fp16_overflow 0
		.amdhsa_workgroup_processor_mode 1
		.amdhsa_memory_ordered 1
		.amdhsa_forward_progress 0
		.amdhsa_round_robin_scheduling 0
		.amdhsa_exception_fp_ieee_invalid_op 0
		.amdhsa_exception_fp_denorm_src 0
		.amdhsa_exception_fp_ieee_div_zero 0
		.amdhsa_exception_fp_ieee_overflow 0
		.amdhsa_exception_fp_ieee_underflow 0
		.amdhsa_exception_fp_ieee_inexact 0
		.amdhsa_exception_int_div_zero 0
	.end_amdhsa_kernel
	.text
.Lfunc_end0:
	.size	fft_rtc_back_len858_factors_13_11_6_wgs_234_tpt_78_halfLds_dp_op_CI_CI_unitstride_sbrr_C2R_dirReg, .Lfunc_end0-fft_rtc_back_len858_factors_13_11_6_wgs_234_tpt_78_halfLds_dp_op_CI_CI_unitstride_sbrr_C2R_dirReg
                                        ; -- End function
	.section	.AMDGPU.csdata,"",@progbits
; Kernel info:
; codeLenInByte = 10760
; NumSgprs: 41
; NumVgprs: 241
; ScratchSize: 0
; MemoryBound: 0
; FloatMode: 240
; IeeeMode: 1
; LDSByteSize: 0 bytes/workgroup (compile time only)
; SGPRBlocks: 5
; VGPRBlocks: 30
; NumSGPRsForWavesPerEU: 41
; NumVGPRsForWavesPerEU: 241
; Occupancy: 5
; WaveLimiterHint : 1
; COMPUTE_PGM_RSRC2:SCRATCH_EN: 0
; COMPUTE_PGM_RSRC2:USER_SGPR: 2
; COMPUTE_PGM_RSRC2:TRAP_HANDLER: 0
; COMPUTE_PGM_RSRC2:TGID_X_EN: 1
; COMPUTE_PGM_RSRC2:TGID_Y_EN: 0
; COMPUTE_PGM_RSRC2:TGID_Z_EN: 0
; COMPUTE_PGM_RSRC2:TIDIG_COMP_CNT: 0
	.text
	.p2alignl 7, 3214868480
	.fill 96, 4, 3214868480
	.type	__hip_cuid_94461884e9dee04e,@object ; @__hip_cuid_94461884e9dee04e
	.section	.bss,"aw",@nobits
	.globl	__hip_cuid_94461884e9dee04e
__hip_cuid_94461884e9dee04e:
	.byte	0                               ; 0x0
	.size	__hip_cuid_94461884e9dee04e, 1

	.ident	"AMD clang version 19.0.0git (https://github.com/RadeonOpenCompute/llvm-project roc-6.4.0 25133 c7fe45cf4b819c5991fe208aaa96edf142730f1d)"
	.section	".note.GNU-stack","",@progbits
	.addrsig
	.addrsig_sym __hip_cuid_94461884e9dee04e
	.amdgpu_metadata
---
amdhsa.kernels:
  - .args:
      - .actual_access:  read_only
        .address_space:  global
        .offset:         0
        .size:           8
        .value_kind:     global_buffer
      - .offset:         8
        .size:           8
        .value_kind:     by_value
      - .actual_access:  read_only
        .address_space:  global
        .offset:         16
        .size:           8
        .value_kind:     global_buffer
      - .actual_access:  read_only
        .address_space:  global
        .offset:         24
        .size:           8
        .value_kind:     global_buffer
      - .actual_access:  read_only
        .address_space:  global
        .offset:         32
        .size:           8
        .value_kind:     global_buffer
      - .offset:         40
        .size:           8
        .value_kind:     by_value
      - .actual_access:  read_only
        .address_space:  global
        .offset:         48
        .size:           8
        .value_kind:     global_buffer
      - .actual_access:  read_only
        .address_space:  global
        .offset:         56
        .size:           8
        .value_kind:     global_buffer
      - .offset:         64
        .size:           4
        .value_kind:     by_value
      - .actual_access:  read_only
        .address_space:  global
        .offset:         72
        .size:           8
        .value_kind:     global_buffer
      - .actual_access:  read_only
        .address_space:  global
        .offset:         80
        .size:           8
        .value_kind:     global_buffer
      - .actual_access:  read_only
        .address_space:  global
        .offset:         88
        .size:           8
        .value_kind:     global_buffer
      - .actual_access:  write_only
        .address_space:  global
        .offset:         96
        .size:           8
        .value_kind:     global_buffer
    .group_segment_fixed_size: 0
    .kernarg_segment_align: 8
    .kernarg_segment_size: 104
    .language:       OpenCL C
    .language_version:
      - 2
      - 0
    .max_flat_workgroup_size: 234
    .name:           fft_rtc_back_len858_factors_13_11_6_wgs_234_tpt_78_halfLds_dp_op_CI_CI_unitstride_sbrr_C2R_dirReg
    .private_segment_fixed_size: 0
    .sgpr_count:     41
    .sgpr_spill_count: 0
    .symbol:         fft_rtc_back_len858_factors_13_11_6_wgs_234_tpt_78_halfLds_dp_op_CI_CI_unitstride_sbrr_C2R_dirReg.kd
    .uniform_work_group_size: 1
    .uses_dynamic_stack: false
    .vgpr_count:     241
    .vgpr_spill_count: 0
    .wavefront_size: 32
    .workgroup_processor_mode: 1
amdhsa.target:   amdgcn-amd-amdhsa--gfx1201
amdhsa.version:
  - 1
  - 2
...

	.end_amdgpu_metadata
